;; amdgpu-corpus repo=ROCm/aiter kind=harvested arch=n/a opt=n/a

/root/src/amdgpu-assembly/repos/ROCm__aiter/hsa/gfx942/fmoe_2stages/fmoe_stage1_bf16_pertokenFp8_doweight_g1u1_48x256_pf2.co:	file format elf64-amdgpu

Disassembly of section .text:

0000000000002a00 <_ZN5aiter53fmoe_stage1_bf16_pertokenFp8_doweight_g1u1_48x256_pf2E>:
	s_and_b32 s1, s1, 0xffff                                   // 000000002A00: 8601FF01 0000FFFF
	s_load_dwordx2 s[8:9], s[0:1], 0x0                         // 000000002A08: C0060200 00000000
	s_load_dwordx2 s[20:21], s[0:1], 0x10                      // 000000002A10: C0060500 00000010
	s_load_dwordx2 s[24:25], s[0:1], 0x20                      // 000000002A18: C0060600 00000020
	s_load_dwordx2 s[48:49], s[0:1], 0x30                      // 000000002A20: C0060C00 00000030
	s_load_dwordx2 s[28:29], s[0:1], 0x40                      // 000000002A28: C0060700 00000040
	s_load_dwordx2 s[32:33], s[0:1], 0x50                      // 000000002A30: C0060800 00000050
	s_load_dwordx2 s[36:37], s[0:1], 0x60                      // 000000002A38: C0060900 00000060
	s_load_dwordx2 s[12:13], s[0:1], 0x70                      // 000000002A40: C0060300 00000070
	s_load_dwordx2 s[44:45], s[0:1], 0x80                      // 000000002A48: C0060B00 00000080
	s_mov_b32 s89, 0                                           // 000000002A50: BED90080
	s_load_dword s64, s[0:1], 0x90                             // 000000002A54: C0021000 00000090
	s_load_dword s65, s[0:1], 0xa0                             // 000000002A5C: C0021040 000000A0
	s_load_dword s66, s[0:1], 0xb0                             // 000000002A64: C0021080 000000B0
	s_load_dword s67, s[0:1], 0xc0                             // 000000002A6C: C00210C0 000000C0
	s_load_dword s68, s[0:1], 0xd0                             // 000000002A74: C0021100 000000D0
	s_load_dword s69, s[0:1], 0xe0                             // 000000002A7C: C0021140 000000E0
	s_load_dword s71, s[0:1], 0xf0                             // 000000002A84: C00211C0 000000F0
	s_load_dword s72, s[0:1], 0x100                            // 000000002A8C: C0021200 00000100
	s_load_dword s74, s[0:1], 0x110                            // 000000002A94: C0021280 00000110
	s_load_dword s76, s[0:1], 0x120                            // 000000002A9C: C0021300 00000120
	s_load_dword s56, s[0:1], 0x130                            // 000000002AA4: C0020E00 00000130
	s_load_dword s88, s[0:1], 0x140                            // 000000002AAC: C0021600 00000140
	s_load_dword s89, s[0:1], 0x150                            // 000000002AB4: C0021640 00000150
	s_load_dwordx2 s[40:41], s[0:1], 0x160                     // 000000002ABC: C0060A00 00000160
	v_lshrrev_b32_e32 v1, 10, v0                               // 000000002AC4: 2002008A
	v_lshrrev_b32_e32 v2, 10, v1                               // 000000002AC8: 2004028A
	v_and_b32_e32 v2, 0x3ff, v2                                // 000000002ACC: 260404FF 000003FF
	v_and_b32_e32 v1, 0x3ff, v1                                // 000000002AD4: 260202FF 000003FF
	v_and_b32_e32 v0, 0x3ff, v0                                // 000000002ADC: 260000FF 000003FF
	v_lshrrev_b32_e32 v3, 6, v0                                // 000000002AE4: 20060086
	v_and_b32_e32 v0, 63, v0                                   // 000000002AE8: 260000BF
	s_mov_b32 s2, s2                                           // 000000002AEC: BE820002
	s_mov_b32 s3, s3                                           // 000000002AF0: BE830003
	s_mov_b32 s4, s4                                           // 000000002AF4: BE840004
	v_readfirstlane_b32 s7, v3                                 // 000000002AF8: 7E0E0503
	s_waitcnt lgkmcnt(0)                                       // 000000002AFC: BF8CC07F
	s_and_b32 s49, s49, 0xffff                                 // 000000002B00: 8631FF31 0000FFFF
	s_load_dword s48, s[48:49], 0x0                            // 000000002B08: C0020C18 00000000
	s_and_b32 s45, s45, 0xffff                                 // 000000002B10: 862DFF2D 0000FFFF
	s_and_b32 s9, s9, 0xffff                                   // 000000002B18: 8609FF09 0000FFFF
	s_mul_i32 s60, s66, s68                                    // 000000002B20: 923C4442
	s_mul_i32 s61, s66, 4                                      // 000000002B24: 923D8442
	s_mov_b32 s22, s60                                         // 000000002B28: BE96003C
	s_mov_b32 s26, -16                                         // 000000002B2C: BE9A00D0
	s_mov_b32 s30, s61                                         // 000000002B30: BE9E003D
	s_mov_b32 s14, 0xc0                                        // 000000002B34: BE8E00FF 000000C0
	s_mov_b32 s38, -16                                         // 000000002B3C: BEA600D0
	s_mov_b32 s10, -16                                         // 000000002B40: BE8A00D0
	s_mov_b32 s34, 0x400                                       // 000000002B44: BEA200FF 00000400
	s_mov_b32 s23, 0x20000                                     // 000000002B4C: BE9700FF 00020000
	s_mov_b32 s27, 0x20000                                     // 000000002B54: BE9B00FF 00020000
	s_mov_b32 s31, 0x20000                                     // 000000002B5C: BE9F00FF 00020000
	s_mov_b32 s35, 0x20000                                     // 000000002B64: BEA300FF 00020000
	s_mov_b32 s15, 0x20000                                     // 000000002B6C: BE8F00FF 00020000
	s_mov_b32 s39, 0x20000                                     // 000000002B74: BEA700FF 00020000
	s_mov_b32 s11, 0x20000                                     // 000000002B7C: BE8B00FF 00020000
	s_and_b32 s21, s21, 0xffff                                 // 000000002B84: 8615FF15 0000FFFF
	s_and_b32 s25, s25, 0xffff                                 // 000000002B8C: 8619FF19 0000FFFF
	s_and_b32 s29, s29, 0xffff                                 // 000000002B94: 861DFF1D 0000FFFF
	s_and_b32 s33, s33, 0xffff                                 // 000000002B9C: 8621FF21 0000FFFF
	s_and_b32 s13, s13, 0xffff                                 // 000000002BA4: 860DFF0D 0000FFFF
	s_and_b32 s37, s37, 0xffff                                 // 000000002BAC: 8625FF25 0000FFFF
	s_or_b32 s21, s21, 0x40000                                 // 000000002BB4: 8715FF15 00040000
	s_or_b32 s25, s25, 0x40000                                 // 000000002BBC: 8719FF19 00040000
	s_or_b32 s29, s29, 0x40000                                 // 000000002BC4: 871DFF1D 00040000
	s_or_b32 s33, s33, 0x40000                                 // 000000002BCC: 8721FF21 00040000
	s_or_b32 s13, s13, 0x40000                                 // 000000002BD4: 870DFF0D 00040000
	s_or_b32 s37, s37, 0x40000                                 // 000000002BDC: 8725FF25 00040000
	s_mov_b32 s42, -16                                         // 000000002BE4: BEAA00D0
	s_mov_b32 s43, 0x20000                                     // 000000002BE8: BEAB00FF 00020000
	s_and_b32 s41, s41, 0xffff                                 // 000000002BF0: 8629FF29 0000FFFF
	s_or_b32 s41, s41, 0x40000                                 // 000000002BF8: 8729FF29 00040000
	v_accvgpr_write_b32 a111, 0                                // 000000002C00: D3D9406F 18000080
	v_mov_b32_e32 v150, 0                                      // 000000002C08: 7F2C0280
	s_waitcnt lgkmcnt(0)                                       // 000000002C0C: BF8CC07F
	s_mul_i32 s60, s3, 48                                      // 000000002C10: 923CB003
	s_cmp_lt_i32 s60, s48                                      // 000000002C14: BF04303C
	s_cbranch_scc0 label_1DA9                                  // 000000002C18: BF841D1F
	s_mov_b32 s80, 0                                           // 000000002C1C: BED00080
	s_lshr_b32 s81, s64, s88                                   // 000000002C20: 8F515840
	s_mul_i32 s60, s3, 4                                       // 000000002C24: 923C8403
	s_add_u32 s44, s60, s44                                    // 000000002C28: 802C2C3C
	s_addc_u32 s45, 0, s45                                     // 000000002C2C: 822D2D80
	s_load_dword s5, s[44:45], 0x0                             // 000000002C30: C0020156 00000000
	s_mul_i32 s60, s3, 48                                      // 000000002C38: 923CB003
	s_mul_i32 s60, 4, s60                                      // 000000002C3C: 923C3C84
	s_add_u32 s12, s60, s12                                    // 000000002C40: 800C0C3C
	s_addc_u32 s13, 0, s13                                     // 000000002C44: 820D0D80
	v_and_b32_e32 v4, 15, v0                                   // 000000002C48: 2608008F
	v_lshlrev_b32_e32 v4, 2, v4                                // 000000002C4C: 24080882
	buffer_load_dword v28, v4, s[12:15], 0 offen               // 000000002C50: E0501000 80031C04
	v_add_u32_e32 v4, 64, v4                                   // 000000002C58: 680808C0
	buffer_load_dword v29, v4, s[12:15], 0 offen               // 000000002C5C: E0501000 80031D04
	v_add_u32_e32 v4, 64, v4                                   // 000000002C64: 680808C0
	buffer_load_dword v30, v4, s[12:15], 0 offen               // 000000002C68: E0501000 80031E04
	v_add_u32_e32 v4, 64, v4                                   // 000000002C70: 680808C0
	s_mul_i32 s60, 4, s7                                       // 000000002C74: 923C0784
	v_lshlrev_b32_e32 v4, 4, v0                                // 000000002C78: 24080084
	v_add_u32_e32 v4, s60, v4                                  // 000000002C7C: 6808083C
	buffer_load_dword v3, v4, s[12:15], 0 offen                // 000000002C80: E0501000 80030304
	v_mov_b32_e32 v52, 0                                       // 000000002C88: 7E680280
	v_mov_b32_e32 v100, 0                                      // 000000002C8C: 7EC80280
	v_mov_b32_e32 v53, 0                                       // 000000002C90: 7E6A0280
	v_mov_b32_e32 v101, 0                                      // 000000002C94: 7ECA0280
	v_mov_b32_e32 v54, 0                                       // 000000002C98: 7E6C0280
	v_mov_b32_e32 v102, 0                                      // 000000002C9C: 7ECC0280
	v_mov_b32_e32 v55, 0                                       // 000000002CA0: 7E6E0280
	v_mov_b32_e32 v103, 0                                      // 000000002CA4: 7ECE0280
	v_mov_b32_e32 v56, 0                                       // 000000002CA8: 7E700280
	v_mov_b32_e32 v104, 0                                      // 000000002CAC: 7ED00280
	v_mov_b32_e32 v57, 0                                       // 000000002CB0: 7E720280
	v_mov_b32_e32 v105, 0                                      // 000000002CB4: 7ED20280
	v_mov_b32_e32 v58, 0                                       // 000000002CB8: 7E740280
	v_mov_b32_e32 v106, 0                                      // 000000002CBC: 7ED40280
	v_mov_b32_e32 v59, 0                                       // 000000002CC0: 7E760280
	v_mov_b32_e32 v107, 0                                      // 000000002CC4: 7ED60280
	v_mov_b32_e32 v60, 0                                       // 000000002CC8: 7E780280
	v_mov_b32_e32 v108, 0                                      // 000000002CCC: 7ED80280
	v_mov_b32_e32 v61, 0                                       // 000000002CD0: 7E7A0280
	v_mov_b32_e32 v109, 0                                      // 000000002CD4: 7EDA0280
	v_mov_b32_e32 v62, 0                                       // 000000002CD8: 7E7C0280
	v_mov_b32_e32 v110, 0                                      // 000000002CDC: 7EDC0280
	v_mov_b32_e32 v63, 0                                       // 000000002CE0: 7E7E0280
	v_mov_b32_e32 v111, 0                                      // 000000002CE4: 7EDE0280
	v_mov_b32_e32 v64, 0                                       // 000000002CE8: 7E800280
	v_mov_b32_e32 v112, 0                                      // 000000002CEC: 7EE00280
	v_mov_b32_e32 v65, 0                                       // 000000002CF0: 7E820280
	v_mov_b32_e32 v113, 0                                      // 000000002CF4: 7EE20280
	v_mov_b32_e32 v66, 0                                       // 000000002CF8: 7E840280
	v_mov_b32_e32 v114, 0                                      // 000000002CFC: 7EE40280
	v_mov_b32_e32 v67, 0                                       // 000000002D00: 7E860280
	v_mov_b32_e32 v115, 0                                      // 000000002D04: 7EE60280
	v_mov_b32_e32 v68, 0                                       // 000000002D08: 7E880280
	v_mov_b32_e32 v116, 0                                      // 000000002D0C: 7EE80280
	v_mov_b32_e32 v69, 0                                       // 000000002D10: 7E8A0280
	v_mov_b32_e32 v117, 0                                      // 000000002D14: 7EEA0280
	v_mov_b32_e32 v70, 0                                       // 000000002D18: 7E8C0280
	v_mov_b32_e32 v118, 0                                      // 000000002D1C: 7EEC0280
	v_mov_b32_e32 v71, 0                                       // 000000002D20: 7E8E0280
	v_mov_b32_e32 v119, 0                                      // 000000002D24: 7EEE0280
	v_mov_b32_e32 v72, 0                                       // 000000002D28: 7E900280
	v_mov_b32_e32 v120, 0                                      // 000000002D2C: 7EF00280
	v_mov_b32_e32 v73, 0                                       // 000000002D30: 7E920280
	v_mov_b32_e32 v121, 0                                      // 000000002D34: 7EF20280
	v_mov_b32_e32 v74, 0                                       // 000000002D38: 7E940280
	v_mov_b32_e32 v122, 0                                      // 000000002D3C: 7EF40280
	v_mov_b32_e32 v75, 0                                       // 000000002D40: 7E960280
	v_mov_b32_e32 v123, 0                                      // 000000002D44: 7EF60280
	v_mov_b32_e32 v76, 0                                       // 000000002D48: 7E980280
	v_mov_b32_e32 v124, 0                                      // 000000002D4C: 7EF80280
	v_mov_b32_e32 v77, 0                                       // 000000002D50: 7E9A0280
	v_mov_b32_e32 v125, 0                                      // 000000002D54: 7EFA0280
	v_mov_b32_e32 v78, 0                                       // 000000002D58: 7E9C0280
	v_mov_b32_e32 v126, 0                                      // 000000002D5C: 7EFC0280
	v_mov_b32_e32 v79, 0                                       // 000000002D60: 7E9E0280
	v_mov_b32_e32 v127, 0                                      // 000000002D64: 7EFE0280
	v_mov_b32_e32 v80, 0                                       // 000000002D68: 7EA00280
	v_mov_b32_e32 v128, 0                                      // 000000002D6C: 7F000280
	v_mov_b32_e32 v81, 0                                       // 000000002D70: 7EA20280
	v_mov_b32_e32 v129, 0                                      // 000000002D74: 7F020280
	v_mov_b32_e32 v82, 0                                       // 000000002D78: 7EA40280
	v_mov_b32_e32 v130, 0                                      // 000000002D7C: 7F040280
	v_mov_b32_e32 v83, 0                                       // 000000002D80: 7EA60280
	v_mov_b32_e32 v131, 0                                      // 000000002D84: 7F060280
	v_mov_b32_e32 v84, 0                                       // 000000002D88: 7EA80280
	v_mov_b32_e32 v132, 0                                      // 000000002D8C: 7F080280
	v_mov_b32_e32 v85, 0                                       // 000000002D90: 7EAA0280
	v_mov_b32_e32 v133, 0                                      // 000000002D94: 7F0A0280
	v_mov_b32_e32 v86, 0                                       // 000000002D98: 7EAC0280
	v_mov_b32_e32 v134, 0                                      // 000000002D9C: 7F0C0280
	v_mov_b32_e32 v87, 0                                       // 000000002DA0: 7EAE0280
	v_mov_b32_e32 v135, 0                                      // 000000002DA4: 7F0E0280
	v_mov_b32_e32 v88, 0                                       // 000000002DA8: 7EB00280
	v_mov_b32_e32 v136, 0                                      // 000000002DAC: 7F100280
	v_mov_b32_e32 v89, 0                                       // 000000002DB0: 7EB20280
	v_mov_b32_e32 v137, 0                                      // 000000002DB4: 7F120280
	v_mov_b32_e32 v90, 0                                       // 000000002DB8: 7EB40280
	v_mov_b32_e32 v138, 0                                      // 000000002DBC: 7F140280
	v_mov_b32_e32 v91, 0                                       // 000000002DC0: 7EB60280
	v_mov_b32_e32 v139, 0                                      // 000000002DC4: 7F160280
	v_mov_b32_e32 v92, 0                                       // 000000002DC8: 7EB80280
	v_mov_b32_e32 v140, 0                                      // 000000002DCC: 7F180280
	v_mov_b32_e32 v93, 0                                       // 000000002DD0: 7EBA0280
	v_mov_b32_e32 v141, 0                                      // 000000002DD4: 7F1A0280
	v_mov_b32_e32 v94, 0                                       // 000000002DD8: 7EBC0280
	v_mov_b32_e32 v142, 0                                      // 000000002DDC: 7F1C0280
	v_mov_b32_e32 v95, 0                                       // 000000002DE0: 7EBE0280
	v_mov_b32_e32 v143, 0                                      // 000000002DE4: 7F1E0280
	v_mov_b32_e32 v96, 0                                       // 000000002DE8: 7EC00280
	v_mov_b32_e32 v144, 0                                      // 000000002DEC: 7F200280
	v_mov_b32_e32 v97, 0                                       // 000000002DF0: 7EC20280
	v_mov_b32_e32 v145, 0                                      // 000000002DF4: 7F220280
	v_mov_b32_e32 v98, 0                                       // 000000002DF8: 7EC40280
	v_mov_b32_e32 v146, 0                                      // 000000002DFC: 7F240280
	v_mov_b32_e32 v99, 0                                       // 000000002E00: 7EC60280
	v_mov_b32_e32 v147, 0                                      // 000000002E04: 7F260280
	s_mul_i32 s60, s2, 0x200                                   // 000000002E08: 923CFF02 00000200
	s_cmp_eq_u32 s88, 0                                        // 000000002E10: BF068058
	s_cselect_b32 s61, 1, 2                                    // 000000002E14: 853D8281
	s_mul_i32 s60, s60, s61                                    // 000000002E18: 923C3D3C
	s_mov_b32 s90, s8                                          // 000000002E1C: BEDA0008
	s_mov_b32 s91, s9                                          // 000000002E20: BEDB0009
	s_add_u32 s8, s60, s8                                      // 000000002E24: 8008083C
	s_addc_u32 s9, 0, s9                                       // 000000002E28: 82090980
	v_lshrrev_b32_e32 v4, 4, v0                                // 000000002E2C: 20080084
	v_mul_lo_u32 v20, 34, v4                                   // 000000002E30: D2850014 000208A2
	v_and_b32_e32 v4, 15, v0                                   // 000000002E38: 2608008F
	v_mul_lo_u32 v5, 2, v4                                     // 000000002E3C: D2850005 00020882
	v_add_u32_e32 v20, v5, v20                                 // 000000002E44: 68282905
	s_mul_i32 s60, s7, 0x88                                    // 000000002E48: 923CFF07 00000088
	v_add_u32_e32 v20, s60, v20                                // 000000002E50: 6828283C
	v_lshlrev_b32_e32 v20, 2, v20                              // 000000002E54: 24282882
	v_and_b32_e32 v4, 31, v0                                   // 000000002E58: 2608009F
	v_lshrrev_b32_e32 v4, 1, v4                                // 000000002E5C: 20080881
	v_mul_lo_u32 v21, 34, v4                                   // 000000002E60: D2850015 000208A2
	v_lshrrev_b32_e32 v4, 5, v0                                // 000000002E68: 20080085
	v_mul_lo_u32 v4, 8, v4                                     // 000000002E6C: D2850004 00020888
	v_add_u32_e32 v21, v21, v4                                 // 000000002E74: 682A0915
	v_and_b32_e32 v5, 1, v0                                    // 000000002E78: 260A0081
	v_add_u32_e32 v21, v5, v21                                 // 000000002E7C: 682A2B05
	s_mul_i32 s60, s7, 2                                       // 000000002E80: 923C8207
	v_add_u32_e32 v21, s60, v21                                // 000000002E84: 682A2A3C
	v_lshlrev_b32_e32 v21, 2, v21                              // 000000002E88: 242A2A82
	s_mul_i32 s60, s7, 0x620                                   // 000000002E8C: 923CFF07 00000620
	s_add_u32 s48, 0, s60                                      // 000000002E94: 80303C80
	s_add_u32 s49, 0x1880, s48                                 // 000000002E98: 803130FF 00001880
	v_lshrrev_b32_e32 v4, 4, v0                                // 000000002EA0: 20080084
	v_lshlrev_b32_e32 v5, 2, v4                                // 000000002EA4: 240A0882
	v_and_b32_e32 v4, 15, v0                                   // 000000002EA8: 2608008F
	v_lshrrev_b32_e32 v6, 2, v4                                // 000000002EAC: 200C0882
	v_lshlrev_b32_e32 v6, 5, v6                                // 000000002EB0: 240C0C85
	v_add_u32_e32 v5, v6, v5                                   // 000000002EB4: 680A0B06
	v_and_b32_e32 v4, 3, v0                                    // 000000002EB8: 26080083
	v_mul_u32_u24_e32 v6, 0x188, v4                            // 000000002EBC: 100C08FF 00000188
	v_add_u32_e32 v5, v6, v5                                   // 000000002EC4: 680A0B06
	v_lshlrev_b32_e32 v2, 2, v5                                // 000000002EC8: 24040A82
	s_waitcnt lgkmcnt(0)                                       // 000000002ECC: BF8CC07F
	s_mul_i32 s60, s2, 0x100                                   // 000000002ED0: 923CFF02 00000100
	s_mul_i32 s60, s60, s69                                    // 000000002ED8: 923C453C
	s_mul_i32 s61, s5, s72                                     // 000000002EDC: 923D4805
	s_add_u32 s60, s61, s60                                    // 000000002EE0: 803C3C3D
	s_add_u32 s24, s60, s24                                    // 000000002EE4: 8018183C
	s_addc_u32 s25, 0, s25                                     // 000000002EE8: 82191980
	s_lshr_b32 s60, s64, s88                                   // 000000002EEC: 8F3C5840
	s_mul_i32 s60, s4, s60                                     // 000000002EF0: 923C3C04
	s_lshr_b32 s60, s60, 7                                     // 000000002EF4: 8F3C873C
	s_mul_i32 s60, s60, 0x800                                  // 000000002EF8: 923CFF3C 00000800
	s_add_u32 s24, s60, s24                                    // 000000002F00: 8018183C
	s_addc_u32 s25, 0, s25                                     // 000000002F04: 82191980
	s_lshr_b32 s60, s69, s88                                   // 000000002F08: 8F3C5845
	s_mul_i32 s60, s4, s60                                     // 000000002F0C: 923C3C04
	s_add_u32 s20, s60, s20                                    // 000000002F10: 8014143C
	s_addc_u32 s21, 0, s21                                     // 000000002F14: 82151580
	s_mul_i32 s60, s7, 16                                      // 000000002F18: 923C9007
	s_mul_i32 s60, s60, s69                                    // 000000002F1C: 923C453C
	v_lshlrev_b32_e32 v46, 4, v0                               // 000000002F20: 245C0084
	v_add_u32_e32 v46, s60, v46                                // 000000002F24: 685C5C3C
	s_mul_i32 s60, 64, s69                                     // 000000002F28: 923C45C0
	v_add_u32_e32 v47, s60, v46                                // 000000002F2C: 685E5C3C
	v_add_u32_e32 v48, s60, v47                                // 000000002F30: 68605E3C
	v_add_u32_e32 v49, s60, v48                                // 000000002F34: 6862603C
	s_mov_b32 s84, s24                                         // 000000002F38: BED40018
	s_mov_b32 s85, s25                                         // 000000002F3C: BED50019
	s_mov_b32 s86, s26                                         // 000000002F40: BED6001A
	s_mov_b32 s87, s27                                         // 000000002F44: BED7001B
	s_mul_i32 s60, s69, s65                                    // 000000002F48: 923C4145
	s_add_u32 s84, s60, s84                                    // 000000002F4C: 8054543C
	s_addc_u32 s85, 0, s85                                     // 000000002F50: 82555580
	v_lshrrev_b32_e32 v4, 4, v0                                // 000000002F54: 20080084
	v_lshlrev_b32_e32 v5, 2, v4                                // 000000002F58: 240A0882
	v_and_b32_e32 v4, 15, v0                                   // 000000002F5C: 2608008F
	v_lshrrev_b32_e32 v6, 2, v4                                // 000000002F60: 200C0882
	v_lshlrev_b32_e32 v6, 6, v6                                // 000000002F64: 240C0C86
	v_add_u32_e32 v5, v6, v5                                   // 000000002F68: 680A0B06
	v_and_b32_e32 v4, 3, v0                                    // 000000002F6C: 26080083
	v_add_u32_e32 v5, v4, v5                                   // 000000002F70: 680A0B04
	v_lshlrev_b32_e32 v22, 2, v5                               // 000000002F74: 242C0A82
	s_mul_i32 s60, s7, 16                                      // 000000002F78: 923C9007
	s_mul_i32 s60, s60, 4                                      // 000000002F7C: 923C843C
	v_add_u32_e32 v22, s60, v22                                // 000000002F80: 682C2C3C
	s_mul_i32 s60, s2, 0x100                                   // 000000002F84: 923CFF02 00000100
	s_mul_i32 s60, s60, 4                                      // 000000002F8C: 923C843C
	s_mul_i32 s61, s5, s74                                     // 000000002F90: 923D4A05
	s_add_u32 s61, s61, s60                                    // 000000002F94: 803D3C3D
	s_add_u32 s32, s61, s32                                    // 000000002F98: 8020203D
	s_addc_u32 s33, 0, s33                                     // 000000002F9C: 82212180
	s_mov_b32 s57, 0x80                                        // 000000002FA0: BEB900FF 00000080
	s_mov_b32 s58, 0x800                                       // 000000002FA8: BEBA00FF 00000800
	s_mov_b32 s83, s58                                         // 000000002FB0: BED3003A
	s_mov_b32 s52, 0x7060302                                   // 000000002FB4: BEB400FF 07060302
	s_mov_b32 s53, 0x400                                       // 000000002FBC: BEB500FF 00000400
	s_mov_b32 s54, 0x40100                                     // 000000002FC4: BEB600FF 00040100
	s_mov_b32 s55, 0x4020100                                   // 000000002FCC: BEB700FF 04020100
	s_mov_b32 s6, 0x3fb8aa3b                                   // 000000002FD4: BE8600FF 3FB8AA3B
	s_mov_b32 s78, 0xbd92220c                                  // 000000002FDC: BECE00FF BD92220C
	s_mov_b32 s79, 0xbd92220c                                  // 000000002FE4: BECF00FF BD92220C
	s_mov_b32 m0, s48                                          // 000000002FEC: BEFC0030
	v_mov_b32_e32 v1, 0xbfcc4231                               // 000000002FF0: 7E0202FF BFCC4231
	v_mov_b32_e32 v17, 0xffff0000                              // 000000002FF8: 7E2202FF FFFF0000
	v_mov_b32_e32 v18, 0x7fff0000                              // 000000003000: 7E2402FF 7FFF0000
	v_mov_b32_e32 v19, 0x7fff                                  // 000000003008: 7E2602FF 00007FFF
	s_waitcnt vmcnt(0) expcnt(0) lgkmcnt(0)                    // 000000003010: BF8C0000
	s_mul_i32 s60, s3, 48                                      // 000000003014: 923CB003
	s_mul_i32 s60, 4, s60                                      // 000000003018: 923C3C84
	s_add_u32 s40, s60, s40                                    // 00000000301C: 8028283C
	s_addc_u32 s41, 0, s41                                     // 000000003020: 82292980
	v_and_b32_e32 v4, 15, v0                                   // 000000003024: 2608008F
	v_lshlrev_b32_e32 v4, 2, v4                                // 000000003028: 24080882
	buffer_load_dword v148, v4, s[40:43], 0 offen              // 00000000302C: E0501000 800A9404
	buffer_load_dword v149, v4, s[40:43], 0 offen offset:64    // 000000003034: E0501040 800A9504
	buffer_load_dword v150, v4, s[40:43], 0 offen offset:128   // 00000000303C: E0501080 800A9604
	v_lshrrev_b32_e32 v4, 5, v0                                // 000000003044: 20080085
	v_xor_b32_e32 v5, 1, v4                                    // 000000003048: 2A0A0881
	v_readlane_b32 s82, v3, 0                                  // 00000000304C: D2890052 00010103
	s_and_b32 s82, s82, 0xffffff                               // 000000003054: 8652FF52 00FFFFFF
	v_mul_lo_u32 v6, v5, s82                                   // 00000000305C: D2850006 0000A505
	v_readlane_b32 s82, v3, 1                                  // 000000003064: D2890052 00010303
	s_and_b32 s82, s82, 0xffffff                               // 00000000306C: 8652FF52 00FFFFFF
	v_mul_lo_u32 v7, v4, s82                                   // 000000003074: D2850007 0000A504
	v_add_u32_e32 v40, v6, v7                                  // 00000000307C: 68500F06
	v_mul_lo_u32 v40, v40, s68                                 // 000000003080: D2850028 00008928
	v_readlane_b32 s82, v3, 2                                  // 000000003088: D2890052 00010503
	s_and_b32 s82, s82, 0xffffff                               // 000000003090: 8652FF52 00FFFFFF
	v_mul_lo_u32 v6, v5, s82                                   // 000000003098: D2850006 0000A505
	v_readlane_b32 s82, v3, 3                                  // 0000000030A0: D2890052 00010703
	s_and_b32 s82, s82, 0xffffff                               // 0000000030A8: 8652FF52 00FFFFFF
	v_mul_lo_u32 v7, v4, s82                                   // 0000000030B0: D2850007 0000A504
	v_add_u32_e32 v41, v6, v7                                  // 0000000030B8: 68520F06
	v_mul_lo_u32 v41, v41, s68                                 // 0000000030BC: D2850029 00008929
	v_readlane_b32 s82, v3, 4                                  // 0000000030C4: D2890052 00010903
	s_and_b32 s82, s82, 0xffffff                               // 0000000030CC: 8652FF52 00FFFFFF
	v_mul_lo_u32 v6, v5, s82                                   // 0000000030D4: D2850006 0000A505
	v_readlane_b32 s82, v3, 5                                  // 0000000030DC: D2890052 00010B03
	s_and_b32 s82, s82, 0xffffff                               // 0000000030E4: 8652FF52 00FFFFFF
	v_mul_lo_u32 v7, v4, s82                                   // 0000000030EC: D2850007 0000A504
	v_add_u32_e32 v42, v6, v7                                  // 0000000030F4: 68540F06
	v_mul_lo_u32 v42, v42, s68                                 // 0000000030F8: D285002A 0000892A
	v_readlane_b32 s82, v3, 6                                  // 000000003100: D2890052 00010D03
	s_and_b32 s82, s82, 0xffffff                               // 000000003108: 8652FF52 00FFFFFF
	v_mul_lo_u32 v6, v5, s82                                   // 000000003110: D2850006 0000A505
	v_readlane_b32 s82, v3, 7                                  // 000000003118: D2890052 00010F03
	s_and_b32 s82, s82, 0xffffff                               // 000000003120: 8652FF52 00FFFFFF
	v_mul_lo_u32 v7, v4, s82                                   // 000000003128: D2850007 0000A504
	v_add_u32_e32 v43, v6, v7                                  // 000000003130: 68560F06
	v_mul_lo_u32 v43, v43, s68                                 // 000000003134: D285002B 0000892B
	v_readlane_b32 s82, v3, 8                                  // 00000000313C: D2890052 00011103
	s_and_b32 s82, s82, 0xffffff                               // 000000003144: 8652FF52 00FFFFFF
	v_mul_lo_u32 v6, v5, s82                                   // 00000000314C: D2850006 0000A505
	v_readlane_b32 s82, v3, 9                                  // 000000003154: D2890052 00011303
	s_and_b32 s82, s82, 0xffffff                               // 00000000315C: 8652FF52 00FFFFFF
	v_mul_lo_u32 v7, v4, s82                                   // 000000003164: D2850007 0000A504
	v_add_u32_e32 v44, v6, v7                                  // 00000000316C: 68580F06
	v_mul_lo_u32 v44, v44, s68                                 // 000000003170: D285002C 0000892C
	v_readlane_b32 s82, v3, 10                                 // 000000003178: D2890052 00011503
	s_and_b32 s82, s82, 0xffffff                               // 000000003180: 8652FF52 00FFFFFF
	v_mul_lo_u32 v6, v5, s82                                   // 000000003188: D2850006 0000A505
	v_readlane_b32 s82, v3, 11                                 // 000000003190: D2890052 00011703
	s_and_b32 s82, s82, 0xffffff                               // 000000003198: 8652FF52 00FFFFFF
	v_mul_lo_u32 v7, v4, s82                                   // 0000000031A0: D2850007 0000A504
	v_add_u32_e32 v45, v6, v7                                  // 0000000031A8: 685A0F06
	v_mul_lo_u32 v45, v45, s68                                 // 0000000031AC: D285002D 0000892D
	v_and_b32_e32 v4, 31, v0                                   // 0000000031B4: 2608009F
	v_lshlrev_b32_e32 v4, 2, v4                                // 0000000031B8: 24080882
	v_add_u32_e32 v40, v40, v4                                 // 0000000031BC: 68500928
	v_add_u32_e32 v41, v41, v4                                 // 0000000031C0: 68520929
	v_add_u32_e32 v42, v42, v4                                 // 0000000031C4: 6854092A
	v_add_u32_e32 v43, v43, v4                                 // 0000000031C8: 6856092B
	v_add_u32_e32 v44, v44, v4                                 // 0000000031CC: 6858092C
	v_add_u32_e32 v45, v45, v4                                 // 0000000031D0: 685A092D
	v_and_b32_e32 v28, 0xffffff, v28                           // 0000000031D4: 263838FF 00FFFFFF
	v_lshlrev_b32_e32 v28, 2, v28                              // 0000000031DC: 24383882
	v_and_b32_e32 v29, 0xffffff, v29                           // 0000000031E0: 263A3AFF 00FFFFFF
	v_lshlrev_b32_e32 v29, 2, v29                              // 0000000031E8: 243A3A82
	v_and_b32_e32 v30, 0xffffff, v30                           // 0000000031EC: 263C3CFF 00FFFFFF
	v_lshlrev_b32_e32 v30, 2, v30                              // 0000000031F4: 243C3C82
	s_lshl_b32 s3, s66, 2                                      // 0000000031F8: 8E038242
	buffer_load_dword v31, v28, s[28:31], 0 offen              // 0000000031FC: E0501000 80071F1C
	buffer_load_dword v32, v29, s[28:31], 0 offen              // 000000003204: E0501000 8007201D
	buffer_load_dword v33, v30, s[28:31], 0 offen              // 00000000320C: E0501000 8007211E
	buffer_load_dword v24, v22, s[32:35], 0 offen              // 000000003214: E0501000 80081816
	s_mul_i32 s60, 4, s65                                      // 00000000321C: 923C4184
	s_add_u32 s32, s60, s32                                    // 000000003220: 8020203C
	s_addc_u32 s33, 0, s33                                     // 000000003224: 82212180
	buffer_load_dword v26, v22, s[32:35], 0 offen              // 000000003228: E0501000 80081A16
	buffer_load_dword v40, s[20:23], 0 offen lds               // 000000003230: E0511000 80050028
	s_add_u32 m0, 0x100, s48                                   // 000000003238: 807C30FF 00000100
	buffer_load_dword v41, s[20:23], 0 offen lds               // 000000003240: E0511000 80050029
	s_add_u32 m0, 0x200, s48                                   // 000000003248: 807C30FF 00000200
	buffer_load_dword v42, s[20:23], 0 offen lds               // 000000003250: E0511000 8005002A
	s_add_u32 m0, 0x300, s48                                   // 000000003258: 807C30FF 00000300
	buffer_load_dword v43, s[20:23], 0 offen lds               // 000000003260: E0511000 8005002B
	s_add_u32 m0, 0x400, s48                                   // 000000003268: 807C30FF 00000400
	buffer_load_dword v44, s[20:23], 0 offen lds               // 000000003270: E0511000 8005002C
	s_add_u32 m0, 0x500, s48                                   // 000000003278: 807C30FF 00000500
	buffer_load_dword v45, s[20:23], 0 offen lds               // 000000003280: E0511000 8005002D
	s_add_u32 m0, 0, s49                                       // 000000003288: 807C3180
	s_add_u32 s20, s57, s20                                    // 00000000328C: 80141439
	s_addc_u32 s21, 0, s21                                     // 000000003290: 82151580
	buffer_load_dword v40, s[20:23], 0 offen lds               // 000000003294: E0511000 80050028
	s_add_u32 m0, 0x100, s49                                   // 00000000329C: 807C31FF 00000100
	buffer_load_dword v41, s[20:23], 0 offen lds               // 0000000032A4: E0511000 80050029
	s_add_u32 m0, 0x200, s49                                   // 0000000032AC: 807C31FF 00000200
	buffer_load_dword v42, s[20:23], 0 offen lds               // 0000000032B4: E0511000 8005002A
	s_add_u32 m0, 0x300, s49                                   // 0000000032BC: 807C31FF 00000300
	buffer_load_dword v43, s[20:23], 0 offen lds               // 0000000032C4: E0511000 8005002B
	s_add_u32 m0, 0x400, s49                                   // 0000000032CC: 807C31FF 00000400
	buffer_load_dword v44, s[20:23], 0 offen lds               // 0000000032D4: E0511000 8005002C
	s_add_u32 m0, 0x500, s49                                   // 0000000032DC: 807C31FF 00000500
	buffer_load_dword v45, s[20:23], 0 offen lds               // 0000000032E4: E0511000 8005002D
	s_add_u32 m0, 0, s48                                       // 0000000032EC: 807C3080
	s_add_u32 s20, s57, s20                                    // 0000000032F0: 80141439
	s_addc_u32 s21, 0, s21                                     // 0000000032F4: 82151580
	buffer_load_dwordx4 a[48:51], v46, s[24:27], 0 offen       // 0000000032F8: E05C1000 8086302E
	buffer_load_dwordx4 a[52:55], v46, s[24:27], 0 offen offset:1024// 000000003300: E05C1400 8086342E
	buffer_load_dwordx4 a[56:59], v47, s[24:27], 0 offen       // 000000003308: E05C1000 8086382F
	buffer_load_dwordx4 a[60:63], v47, s[24:27], 0 offen offset:1024// 000000003310: E05C1400 80863C2F
	buffer_load_dwordx4 a[64:67], v48, s[24:27], 0 offen       // 000000003318: E05C1000 80864030
	buffer_load_dwordx4 a[68:71], v48, s[24:27], 0 offen offset:1024// 000000003320: E05C1400 80864430
	buffer_load_dwordx4 a[72:75], v49, s[24:27], 0 offen       // 000000003328: E05C1000 80864831
	buffer_load_dwordx4 a[76:79], v49, s[24:27], 0 offen offset:1024// 000000003330: E05C1400 80864C31
	s_add_u32 s24, s58, s24                                    // 000000003338: 8018183A
	s_addc_u32 s25, 0, s25                                     // 00000000333C: 82191980
	s_waitcnt vmcnt(14)                                        // 000000003340: BF8C0F7E
	s_barrier                                                  // 000000003344: BF8A0000
	ds_read_b128 a[0:3], v2                                    // 000000003348: DBFE0000 00000002
	ds_read_b128 a[4:7], v2 offset:64                          // 000000003350: DBFE0040 04000002
	ds_read_b128 a[8:11], v2 offset:512                        // 000000003358: DBFE0200 08000002
	ds_read_b128 a[12:15], v2 offset:576                       // 000000003360: DBFE0240 0C000002
	ds_read_b128 a[16:19], v2 offset:1024                      // 000000003368: DBFE0400 10000002
	ds_read_b128 a[20:23], v2 offset:1088                      // 000000003370: DBFE0440 14000002
	s_cmp_lt_i32 s7, 2                                         // 000000003378: BF048207
	s_cbranch_scc0 label_1006                                  // 00000000337C: BF840DA3

0000000000003380 <label_0260>:
	s_waitcnt vmcnt(6) lgkmcnt(0)                              // 000000003380: BF8C0076
	s_barrier                                                  // 000000003384: BF8A0000
	v_mfma_f32_16x16x32_fp8_fp8 v[52:55], a[48:49], a[0:1], v[52:55]// 000000003388: D3F30034 1CD20130
	v_mfma_f32_16x16x32_fp8_fp8 v[52:55], a[50:51], a[2:3], v[52:55]// 000000003390: D3F30034 1CD20532
	buffer_load_dwordx4 a[80:83], v46, s[84:87], 0 offen       // 000000003398: E05C1000 8095502E
	v_mfma_f32_16x16x32_fp8_fp8 v[52:55], a[52:53], a[4:5], v[52:55]// 0000000033A0: D3F30034 1CD20934
	v_mfma_f32_16x16x32_fp8_fp8 v[52:55], a[54:55], a[6:7], v[52:55]// 0000000033A8: D3F30034 1CD20D36
	v_mfma_f32_16x16x32_fp8_fp8 v[56:59], a[48:49], a[8:9], v[56:59]// 0000000033B0: D3F30038 1CE21130
	v_mfma_f32_16x16x32_fp8_fp8 v[56:59], a[50:51], a[10:11], v[56:59]// 0000000033B8: D3F30038 1CE21532
	buffer_load_dwordx4 a[84:87], v46, s[84:87], 0 offen offset:1024// 0000000033C0: E05C1400 8095542E
	v_mfma_f32_16x16x32_fp8_fp8 v[56:59], a[52:53], a[12:13], v[56:59]// 0000000033C8: D3F30038 1CE21934
	v_mfma_f32_16x16x32_fp8_fp8 v[56:59], a[54:55], a[14:15], v[56:59]// 0000000033D0: D3F30038 1CE21D36
	v_mfma_f32_16x16x32_fp8_fp8 v[60:63], a[48:49], a[16:17], v[60:63]// 0000000033D8: D3F3003C 1CF22130
	v_mfma_f32_16x16x32_fp8_fp8 v[60:63], a[50:51], a[18:19], v[60:63]// 0000000033E0: D3F3003C 1CF22532
	buffer_load_dwordx4 a[88:91], v47, s[84:87], 0 offen       // 0000000033E8: E05C1000 8095582F
	v_mfma_f32_16x16x32_fp8_fp8 v[60:63], a[52:53], a[20:21], v[60:63]// 0000000033F0: D3F3003C 1CF22934
	v_mfma_f32_16x16x32_fp8_fp8 v[60:63], a[54:55], a[22:23], v[60:63]// 0000000033F8: D3F3003C 1CF22D36
	s_waitcnt vmcnt(7)                                         // 000000003400: BF8C0F77
	v_mfma_f32_16x16x32_fp8_fp8 v[64:67], a[56:57], a[0:1], v[64:67]// 000000003404: D3F30040 1D020138
	v_mfma_f32_16x16x32_fp8_fp8 v[64:67], a[58:59], a[2:3], v[64:67]// 00000000340C: D3F30040 1D02053A
	buffer_load_dwordx4 a[92:95], v47, s[84:87], 0 offen offset:1024// 000000003414: E05C1400 80955C2F
	v_mfma_f32_16x16x32_fp8_fp8 v[64:67], a[60:61], a[4:5], v[64:67]// 00000000341C: D3F30040 1D02093C
	v_mfma_f32_16x16x32_fp8_fp8 v[64:67], a[62:63], a[6:7], v[64:67]// 000000003424: D3F30040 1D020D3E
	v_mfma_f32_16x16x32_fp8_fp8 v[68:71], a[56:57], a[8:9], v[68:71]// 00000000342C: D3F30044 1D121138
	v_mfma_f32_16x16x32_fp8_fp8 v[68:71], a[58:59], a[10:11], v[68:71]// 000000003434: D3F30044 1D12153A
	buffer_load_dwordx4 a[96:99], v48, s[84:87], 0 offen       // 00000000343C: E05C1000 80956030
	v_mfma_f32_16x16x32_fp8_fp8 v[68:71], a[60:61], a[12:13], v[68:71]// 000000003444: D3F30044 1D12193C
	v_mfma_f32_16x16x32_fp8_fp8 v[68:71], a[62:63], a[14:15], v[68:71]// 00000000344C: D3F30044 1D121D3E
	v_mfma_f32_16x16x32_fp8_fp8 v[72:75], a[56:57], a[16:17], v[72:75]// 000000003454: D3F30048 1D222138
	v_mfma_f32_16x16x32_fp8_fp8 v[72:75], a[58:59], a[18:19], v[72:75]// 00000000345C: D3F30048 1D22253A
	buffer_load_dwordx4 a[100:103], v48, s[84:87], 0 offen offset:1024// 000000003464: E05C1400 80956430
	v_mfma_f32_16x16x32_fp8_fp8 v[72:75], a[60:61], a[20:21], v[72:75]// 00000000346C: D3F30048 1D22293C
	v_mfma_f32_16x16x32_fp8_fp8 v[72:75], a[62:63], a[22:23], v[72:75]// 000000003474: D3F30048 1D222D3E
	s_waitcnt vmcnt(8)                                         // 00000000347C: BF8C0F78
	v_mfma_f32_16x16x32_fp8_fp8 v[76:79], a[64:65], a[0:1], v[76:79]// 000000003480: D3F3004C 1D320140
	v_mfma_f32_16x16x32_fp8_fp8 v[76:79], a[66:67], a[2:3], v[76:79]// 000000003488: D3F3004C 1D320542
	buffer_load_dwordx4 a[104:107], v49, s[84:87], 0 offen     // 000000003490: E05C1000 80956831
	v_mfma_f32_16x16x32_fp8_fp8 v[76:79], a[68:69], a[4:5], v[76:79]// 000000003498: D3F3004C 1D320944
	v_mfma_f32_16x16x32_fp8_fp8 v[76:79], a[70:71], a[6:7], v[76:79]// 0000000034A0: D3F3004C 1D320D46
	v_mfma_f32_16x16x32_fp8_fp8 v[80:83], a[64:65], a[8:9], v[80:83]// 0000000034A8: D3F30050 1D421140
	v_mfma_f32_16x16x32_fp8_fp8 v[80:83], a[66:67], a[10:11], v[80:83]// 0000000034B0: D3F30050 1D421542
	buffer_load_dwordx4 a[108:111], v49, s[84:87], 0 offen offset:1024// 0000000034B8: E05C1400 80956C31
	buffer_load_dword v40, s[20:23], 0 offen lds               // 0000000034C0: E0511000 80050028
	s_add_u32 m0, 0x100, s48                                   // 0000000034C8: 807C30FF 00000100
	v_mfma_f32_16x16x32_fp8_fp8 v[80:83], a[68:69], a[12:13], v[80:83]// 0000000034D0: D3F30050 1D421944
	v_mfma_f32_16x16x32_fp8_fp8 v[80:83], a[70:71], a[14:15], v[80:83]// 0000000034D8: D3F30050 1D421D46
	buffer_load_dword v41, s[20:23], 0 offen lds               // 0000000034E0: E0511000 80050029
	s_add_u32 m0, 0x200, s48                                   // 0000000034E8: 807C30FF 00000200
	v_mfma_f32_16x16x32_fp8_fp8 v[84:87], a[64:65], a[16:17], v[84:87]// 0000000034F0: D3F30054 1D522140
	v_mfma_f32_16x16x32_fp8_fp8 v[84:87], a[66:67], a[18:19], v[84:87]// 0000000034F8: D3F30054 1D522542
	buffer_load_dword v42, s[20:23], 0 offen lds               // 000000003500: E0511000 8005002A
	s_add_u32 m0, 0x300, s48                                   // 000000003508: 807C30FF 00000300
	v_mfma_f32_16x16x32_fp8_fp8 v[84:87], a[68:69], a[20:21], v[84:87]// 000000003510: D3F30054 1D522944
	v_mfma_f32_16x16x32_fp8_fp8 v[84:87], a[70:71], a[22:23], v[84:87]// 000000003518: D3F30054 1D522D46
	buffer_load_dword v43, s[20:23], 0 offen lds               // 000000003520: E0511000 8005002B
	s_add_u32 m0, 0x400, s48                                   // 000000003528: 807C30FF 00000400
	s_waitcnt vmcnt(12)                                        // 000000003530: BF8C0F7C
	v_mfma_f32_16x16x32_fp8_fp8 v[88:91], a[72:73], a[0:1], v[88:91]// 000000003534: D3F30058 1D620148
	v_mfma_f32_16x16x32_fp8_fp8 v[88:91], a[74:75], a[2:3], v[88:91]// 00000000353C: D3F30058 1D62054A
	buffer_load_dword v44, s[20:23], 0 offen lds               // 000000003544: E0511000 8005002C
	s_add_u32 m0, 0x500, s48                                   // 00000000354C: 807C30FF 00000500
	v_mfma_f32_16x16x32_fp8_fp8 v[88:91], a[76:77], a[4:5], v[88:91]// 000000003554: D3F30058 1D62094C
	v_mfma_f32_16x16x32_fp8_fp8 v[88:91], a[78:79], a[6:7], v[88:91]// 00000000355C: D3F30058 1D620D4E
	buffer_load_dword v45, s[20:23], 0 offen lds               // 000000003564: E0511000 8005002D
	s_add_u32 m0, 0, s49                                       // 00000000356C: 807C3180
	v_mfma_f32_16x16x32_fp8_fp8 v[92:95], a[72:73], a[8:9], v[92:95]// 000000003570: D3F3005C 1D721148
	v_mfma_f32_16x16x32_fp8_fp8 v[92:95], a[74:75], a[10:11], v[92:95]// 000000003578: D3F3005C 1D72154A
	v_mfma_f32_16x16x32_fp8_fp8 v[92:95], a[76:77], a[12:13], v[92:95]// 000000003580: D3F3005C 1D72194C
	v_mfma_f32_16x16x32_fp8_fp8 v[92:95], a[78:79], a[14:15], v[92:95]// 000000003588: D3F3005C 1D721D4E
	v_mfma_f32_16x16x32_fp8_fp8 v[96:99], a[72:73], a[16:17], v[96:99]// 000000003590: D3F30060 1D822148
	v_mfma_f32_16x16x32_fp8_fp8 v[96:99], a[74:75], a[18:19], v[96:99]// 000000003598: D3F30060 1D82254A
	s_add_u32 s60, 0x80, s80                                   // 0000000035A0: 803C50FF 00000080
	s_cmp_lt_u32 s60, s81                                      // 0000000035A8: BF0A513C
	s_cselect_b32 s83, s83, 0                                  // 0000000035AC: 85538053
	v_mfma_f32_16x16x32_fp8_fp8 v[96:99], a[76:77], a[20:21], v[96:99]// 0000000035B0: D3F30060 1D82294C
	v_mfma_f32_16x16x32_fp8_fp8 v[96:99], a[78:79], a[22:23], v[96:99]// 0000000035B8: D3F30060 1D822D4E
	s_waitcnt vmcnt(6)                                         // 0000000035C0: BF8C0F76
	v_mfma_f32_16x16x32_fp8_fp8 v[100:103], a[80:81], a[0:1], v[100:103]// 0000000035C4: D3F30064 1D920150
	v_mfma_f32_16x16x32_fp8_fp8 v[100:103], a[82:83], a[2:3], v[100:103]// 0000000035CC: D3F30064 1D920552
	buffer_load_dwordx4 a[48:51], v46, s[24:27], 0 offen       // 0000000035D4: E05C1000 8086302E
	v_mfma_f32_16x16x32_fp8_fp8 v[100:103], a[84:85], a[4:5], v[100:103]// 0000000035DC: D3F30064 1D920954
	v_mfma_f32_16x16x32_fp8_fp8 v[100:103], a[86:87], a[6:7], v[100:103]// 0000000035E4: D3F30064 1D920D56
	ds_read_b128 a[24:27], v2 offset:6272                      // 0000000035EC: DBFE1880 18000002
	ds_read_b128 a[28:31], v2 offset:6336                      // 0000000035F4: DBFE18C0 1C000002
	v_mfma_f32_16x16x32_fp8_fp8 v[112:115], a[88:89], a[0:1], v[112:115]// 0000000035FC: D3F30070 1DC20158
	v_mfma_f32_16x16x32_fp8_fp8 v[112:115], a[90:91], a[2:3], v[112:115]// 000000003604: D3F30070 1DC2055A
	buffer_load_dwordx4 a[52:55], v46, s[24:27], 0 offen offset:1024// 00000000360C: E05C1400 8086342E
	v_mfma_f32_16x16x32_fp8_fp8 v[112:115], a[92:93], a[4:5], v[112:115]// 000000003614: D3F30070 1DC2095C
	v_mfma_f32_16x16x32_fp8_fp8 v[112:115], a[94:95], a[6:7], v[112:115]// 00000000361C: D3F30070 1DC20D5E
	ds_read_b128 a[32:35], v2 offset:6784                      // 000000003624: DBFE1A80 20000002
	ds_read_b128 a[36:39], v2 offset:6848                      // 00000000362C: DBFE1AC0 24000002
	v_mfma_f32_16x16x32_fp8_fp8 v[124:127], a[96:97], a[0:1], v[124:127]// 000000003634: D3F3007C 1DF20160
	v_mfma_f32_16x16x32_fp8_fp8 v[124:127], a[98:99], a[2:3], v[124:127]// 00000000363C: D3F3007C 1DF20562
	buffer_load_dwordx4 a[56:59], v47, s[24:27], 0 offen       // 000000003644: E05C1000 8086382F
	v_mfma_f32_16x16x32_fp8_fp8 v[124:127], a[100:101], a[4:5], v[124:127]// 00000000364C: D3F3007C 1DF20964
	v_mfma_f32_16x16x32_fp8_fp8 v[124:127], a[102:103], a[6:7], v[124:127]// 000000003654: D3F3007C 1DF20D66
	ds_read_b128 a[40:43], v2 offset:7296                      // 00000000365C: DBFE1C80 28000002
	ds_read_b128 a[44:47], v2 offset:7360                      // 000000003664: DBFE1CC0 2C000002
	v_mfma_f32_16x16x32_fp8_fp8 v[136:139], a[104:105], a[0:1], v[136:139]// 00000000366C: D3F30088 1E220168
	v_mfma_f32_16x16x32_fp8_fp8 v[136:139], a[106:107], a[2:3], v[136:139]// 000000003674: D3F30088 1E22056A
	buffer_load_dwordx4 a[60:63], v47, s[24:27], 0 offen offset:1024// 00000000367C: E05C1400 80863C2F
	v_mfma_f32_16x16x32_fp8_fp8 v[136:139], a[108:109], a[4:5], v[136:139]// 000000003684: D3F30088 1E22096C
	v_mfma_f32_16x16x32_fp8_fp8 v[136:139], a[110:111], a[6:7], v[136:139]// 00000000368C: D3F30088 1E220D6E
	v_mfma_f32_16x16x32_fp8_fp8 v[104:107], a[80:81], a[8:9], v[104:107]// 000000003694: D3F30068 1DA21150
	v_mfma_f32_16x16x32_fp8_fp8 v[104:107], a[82:83], a[10:11], v[104:107]// 00000000369C: D3F30068 1DA21552
	buffer_load_dwordx4 a[64:67], v48, s[24:27], 0 offen       // 0000000036A4: E05C1000 80864030
	v_mfma_f32_16x16x32_fp8_fp8 v[104:107], a[84:85], a[12:13], v[104:107]// 0000000036AC: D3F30068 1DA21954
	v_mfma_f32_16x16x32_fp8_fp8 v[104:107], a[86:87], a[14:15], v[104:107]// 0000000036B4: D3F30068 1DA21D56
	v_mfma_f32_16x16x32_fp8_fp8 v[116:119], a[88:89], a[8:9], v[116:119]// 0000000036BC: D3F30074 1DD21158
	v_mfma_f32_16x16x32_fp8_fp8 v[116:119], a[90:91], a[10:11], v[116:119]// 0000000036C4: D3F30074 1DD2155A
	buffer_load_dwordx4 a[68:71], v48, s[24:27], 0 offen offset:1024// 0000000036CC: E05C1400 80864430
	v_mfma_f32_16x16x32_fp8_fp8 v[116:119], a[92:93], a[12:13], v[116:119]// 0000000036D4: D3F30074 1DD2195C
	v_mfma_f32_16x16x32_fp8_fp8 v[116:119], a[94:95], a[14:15], v[116:119]// 0000000036DC: D3F30074 1DD21D5E
	v_mfma_f32_16x16x32_fp8_fp8 v[128:131], a[96:97], a[8:9], v[128:131]// 0000000036E4: D3F30080 1E021160
	v_mfma_f32_16x16x32_fp8_fp8 v[128:131], a[98:99], a[10:11], v[128:131]// 0000000036EC: D3F30080 1E021562
	buffer_load_dwordx4 a[72:75], v49, s[24:27], 0 offen       // 0000000036F4: E05C1000 80864831
	v_mfma_f32_16x16x32_fp8_fp8 v[128:131], a[100:101], a[12:13], v[128:131]// 0000000036FC: D3F30080 1E021964
	v_mfma_f32_16x16x32_fp8_fp8 v[128:131], a[102:103], a[14:15], v[128:131]// 000000003704: D3F30080 1E021D66
	v_mfma_f32_16x16x32_fp8_fp8 v[140:143], a[104:105], a[8:9], v[140:143]// 00000000370C: D3F3008C 1E321168
	v_mfma_f32_16x16x32_fp8_fp8 v[140:143], a[106:107], a[10:11], v[140:143]// 000000003714: D3F3008C 1E32156A
	buffer_load_dwordx4 a[76:79], v49, s[24:27], 0 offen offset:1024// 00000000371C: E05C1400 80864C31
	v_mfma_f32_16x16x32_fp8_fp8 v[140:143], a[108:109], a[12:13], v[140:143]// 000000003724: D3F3008C 1E32196C
	v_mfma_f32_16x16x32_fp8_fp8 v[140:143], a[110:111], a[14:15], v[140:143]// 00000000372C: D3F3008C 1E321D6E
	v_mfma_f32_16x16x32_fp8_fp8 v[108:111], a[80:81], a[16:17], v[108:111]// 000000003734: D3F3006C 1DB22150
	v_mfma_f32_16x16x32_fp8_fp8 v[108:111], a[82:83], a[18:19], v[108:111]// 00000000373C: D3F3006C 1DB22552
	v_mfma_f32_16x16x32_fp8_fp8 v[108:111], a[84:85], a[20:21], v[108:111]// 000000003744: D3F3006C 1DB22954
	v_mfma_f32_16x16x32_fp8_fp8 v[108:111], a[86:87], a[22:23], v[108:111]// 00000000374C: D3F3006C 1DB22D56
	v_mfma_f32_16x16x32_fp8_fp8 v[120:123], a[88:89], a[16:17], v[120:123]// 000000003754: D3F30078 1DE22158
	v_mfma_f32_16x16x32_fp8_fp8 v[120:123], a[90:91], a[18:19], v[120:123]// 00000000375C: D3F30078 1DE2255A
	v_mfma_f32_16x16x32_fp8_fp8 v[120:123], a[92:93], a[20:21], v[120:123]// 000000003764: D3F30078 1DE2295C
	v_mfma_f32_16x16x32_fp8_fp8 v[120:123], a[94:95], a[22:23], v[120:123]// 00000000376C: D3F30078 1DE22D5E
	v_mfma_f32_16x16x32_fp8_fp8 v[132:135], a[96:97], a[16:17], v[132:135]// 000000003774: D3F30084 1E122160
	v_mfma_f32_16x16x32_fp8_fp8 v[132:135], a[98:99], a[18:19], v[132:135]// 00000000377C: D3F30084 1E122562
	v_mfma_f32_16x16x32_fp8_fp8 v[132:135], a[100:101], a[20:21], v[132:135]// 000000003784: D3F30084 1E122964
	s_add_u32 s60, 0x180, s80                                  // 00000000378C: 803C50FF 00000180
	s_cmp_lt_u32 s60, s81                                      // 000000003794: BF0A513C
	s_cselect_b32 s57, s57, 0                                  // 000000003798: 85398039
	v_mfma_f32_16x16x32_fp8_fp8 v[132:135], a[102:103], a[22:23], v[132:135]// 00000000379C: D3F30084 1E122D66
	s_add_u32 s60, 0x100, s80                                  // 0000000037A4: 803C50FF 00000100
	s_cmp_lt_u32 s60, s81                                      // 0000000037AC: BF0A513C
	s_cselect_b32 s58, s58, 0                                  // 0000000037B0: 853A803A
	v_mfma_f32_16x16x32_fp8_fp8 v[144:147], a[104:105], a[16:17], v[144:147]// 0000000037B4: D3F30090 1E422168
	s_add_u32 s24, s58, s24                                    // 0000000037BC: 8018183A
	s_addc_u32 s25, 0, s25                                     // 0000000037C0: 82191980
	v_mfma_f32_16x16x32_fp8_fp8 v[144:147], a[106:107], a[18:19], v[144:147]// 0000000037C4: D3F30090 1E42256A
	s_add_u32 s20, s57, s20                                    // 0000000037CC: 80141439
	s_addc_u32 s21, 0, s21                                     // 0000000037D0: 82151580
	v_mfma_f32_16x16x32_fp8_fp8 v[144:147], a[108:109], a[20:21], v[144:147]// 0000000037D4: D3F30090 1E42296C
	s_add_u32 s84, s83, s84                                    // 0000000037DC: 80545453
	s_addc_u32 s85, 0, s85                                     // 0000000037E0: 82555580
	v_mfma_f32_16x16x32_fp8_fp8 v[144:147], a[110:111], a[22:23], v[144:147]// 0000000037E4: D3F30090 1E422D6E
	s_addk_i32 s80, 0x80                                       // 0000000037EC: B7500080
	s_cmp_lt_i32 s80, s81                                      // 0000000037F0: BF045150
	s_cbranch_scc0 label_049D                                  // 0000000037F4: BF84011F
	s_waitcnt vmcnt(6) lgkmcnt(0)                              // 0000000037F8: BF8C0076
	s_barrier                                                  // 0000000037FC: BF8A0000
	v_mfma_f32_16x16x32_fp8_fp8 v[52:55], a[48:49], a[24:25], v[52:55]// 000000003800: D3F30034 1CD23130
	v_mfma_f32_16x16x32_fp8_fp8 v[52:55], a[50:51], a[26:27], v[52:55]// 000000003808: D3F30034 1CD23532
	buffer_load_dwordx4 a[80:83], v46, s[84:87], 0 offen       // 000000003810: E05C1000 8095502E
	v_mfma_f32_16x16x32_fp8_fp8 v[52:55], a[52:53], a[28:29], v[52:55]// 000000003818: D3F30034 1CD23934
	v_mfma_f32_16x16x32_fp8_fp8 v[52:55], a[54:55], a[30:31], v[52:55]// 000000003820: D3F30034 1CD23D36
	v_mfma_f32_16x16x32_fp8_fp8 v[56:59], a[48:49], a[32:33], v[56:59]// 000000003828: D3F30038 1CE24130
	v_mfma_f32_16x16x32_fp8_fp8 v[56:59], a[50:51], a[34:35], v[56:59]// 000000003830: D3F30038 1CE24532
	buffer_load_dwordx4 a[84:87], v46, s[84:87], 0 offen offset:1024// 000000003838: E05C1400 8095542E
	v_mfma_f32_16x16x32_fp8_fp8 v[56:59], a[52:53], a[36:37], v[56:59]// 000000003840: D3F30038 1CE24934
	v_mfma_f32_16x16x32_fp8_fp8 v[56:59], a[54:55], a[38:39], v[56:59]// 000000003848: D3F30038 1CE24D36
	v_mfma_f32_16x16x32_fp8_fp8 v[60:63], a[48:49], a[40:41], v[60:63]// 000000003850: D3F3003C 1CF25130
	v_mfma_f32_16x16x32_fp8_fp8 v[60:63], a[50:51], a[42:43], v[60:63]// 000000003858: D3F3003C 1CF25532
	buffer_load_dwordx4 a[88:91], v47, s[84:87], 0 offen       // 000000003860: E05C1000 8095582F
	v_mfma_f32_16x16x32_fp8_fp8 v[60:63], a[52:53], a[44:45], v[60:63]// 000000003868: D3F3003C 1CF25934
	v_mfma_f32_16x16x32_fp8_fp8 v[60:63], a[54:55], a[46:47], v[60:63]// 000000003870: D3F3003C 1CF25D36
	s_waitcnt vmcnt(7)                                         // 000000003878: BF8C0F77
	v_mfma_f32_16x16x32_fp8_fp8 v[64:67], a[56:57], a[24:25], v[64:67]// 00000000387C: D3F30040 1D023138
	v_mfma_f32_16x16x32_fp8_fp8 v[64:67], a[58:59], a[26:27], v[64:67]// 000000003884: D3F30040 1D02353A
	buffer_load_dwordx4 a[92:95], v47, s[84:87], 0 offen offset:1024// 00000000388C: E05C1400 80955C2F
	v_mfma_f32_16x16x32_fp8_fp8 v[64:67], a[60:61], a[28:29], v[64:67]// 000000003894: D3F30040 1D02393C
	v_mfma_f32_16x16x32_fp8_fp8 v[64:67], a[62:63], a[30:31], v[64:67]// 00000000389C: D3F30040 1D023D3E
	v_mfma_f32_16x16x32_fp8_fp8 v[68:71], a[56:57], a[32:33], v[68:71]// 0000000038A4: D3F30044 1D124138
	v_mfma_f32_16x16x32_fp8_fp8 v[68:71], a[58:59], a[34:35], v[68:71]// 0000000038AC: D3F30044 1D12453A
	buffer_load_dwordx4 a[96:99], v48, s[84:87], 0 offen       // 0000000038B4: E05C1000 80956030
	v_mfma_f32_16x16x32_fp8_fp8 v[68:71], a[60:61], a[36:37], v[68:71]// 0000000038BC: D3F30044 1D12493C
	v_mfma_f32_16x16x32_fp8_fp8 v[68:71], a[62:63], a[38:39], v[68:71]// 0000000038C4: D3F30044 1D124D3E
	v_mfma_f32_16x16x32_fp8_fp8 v[72:75], a[56:57], a[40:41], v[72:75]// 0000000038CC: D3F30048 1D225138
	v_mfma_f32_16x16x32_fp8_fp8 v[72:75], a[58:59], a[42:43], v[72:75]// 0000000038D4: D3F30048 1D22553A
	buffer_load_dwordx4 a[100:103], v48, s[84:87], 0 offen offset:1024// 0000000038DC: E05C1400 80956430
	v_mfma_f32_16x16x32_fp8_fp8 v[72:75], a[60:61], a[44:45], v[72:75]// 0000000038E4: D3F30048 1D22593C
	v_mfma_f32_16x16x32_fp8_fp8 v[72:75], a[62:63], a[46:47], v[72:75]// 0000000038EC: D3F30048 1D225D3E
	s_waitcnt vmcnt(8)                                         // 0000000038F4: BF8C0F78
	v_mfma_f32_16x16x32_fp8_fp8 v[76:79], a[64:65], a[24:25], v[76:79]// 0000000038F8: D3F3004C 1D323140
	v_mfma_f32_16x16x32_fp8_fp8 v[76:79], a[66:67], a[26:27], v[76:79]// 000000003900: D3F3004C 1D323542
	buffer_load_dwordx4 a[104:107], v49, s[84:87], 0 offen     // 000000003908: E05C1000 80956831
	v_mfma_f32_16x16x32_fp8_fp8 v[76:79], a[68:69], a[28:29], v[76:79]// 000000003910: D3F3004C 1D323944
	v_mfma_f32_16x16x32_fp8_fp8 v[76:79], a[70:71], a[30:31], v[76:79]// 000000003918: D3F3004C 1D323D46
	v_mfma_f32_16x16x32_fp8_fp8 v[80:83], a[64:65], a[32:33], v[80:83]// 000000003920: D3F30050 1D424140
	v_mfma_f32_16x16x32_fp8_fp8 v[80:83], a[66:67], a[34:35], v[80:83]// 000000003928: D3F30050 1D424542
	buffer_load_dwordx4 a[108:111], v49, s[84:87], 0 offen offset:1024// 000000003930: E05C1400 80956C31
	buffer_load_dword v40, s[20:23], 0 offen lds               // 000000003938: E0511000 80050028
	s_add_u32 m0, 0x100, s49                                   // 000000003940: 807C31FF 00000100
	v_mfma_f32_16x16x32_fp8_fp8 v[80:83], a[68:69], a[36:37], v[80:83]// 000000003948: D3F30050 1D424944
	v_mfma_f32_16x16x32_fp8_fp8 v[80:83], a[70:71], a[38:39], v[80:83]// 000000003950: D3F30050 1D424D46
	buffer_load_dword v41, s[20:23], 0 offen lds               // 000000003958: E0511000 80050029
	s_add_u32 m0, 0x200, s49                                   // 000000003960: 807C31FF 00000200
	v_mfma_f32_16x16x32_fp8_fp8 v[84:87], a[64:65], a[40:41], v[84:87]// 000000003968: D3F30054 1D525140
	v_mfma_f32_16x16x32_fp8_fp8 v[84:87], a[66:67], a[42:43], v[84:87]// 000000003970: D3F30054 1D525542
	buffer_load_dword v42, s[20:23], 0 offen lds               // 000000003978: E0511000 8005002A
	s_add_u32 m0, 0x300, s49                                   // 000000003980: 807C31FF 00000300
	v_mfma_f32_16x16x32_fp8_fp8 v[84:87], a[68:69], a[44:45], v[84:87]// 000000003988: D3F30054 1D525944
	v_mfma_f32_16x16x32_fp8_fp8 v[84:87], a[70:71], a[46:47], v[84:87]// 000000003990: D3F30054 1D525D46
	buffer_load_dword v43, s[20:23], 0 offen lds               // 000000003998: E0511000 8005002B
	s_add_u32 m0, 0x400, s49                                   // 0000000039A0: 807C31FF 00000400
	s_waitcnt vmcnt(12)                                        // 0000000039A8: BF8C0F7C
	v_mfma_f32_16x16x32_fp8_fp8 v[88:91], a[72:73], a[24:25], v[88:91]// 0000000039AC: D3F30058 1D623148
	v_mfma_f32_16x16x32_fp8_fp8 v[88:91], a[74:75], a[26:27], v[88:91]// 0000000039B4: D3F30058 1D62354A
	buffer_load_dword v44, s[20:23], 0 offen lds               // 0000000039BC: E0511000 8005002C
	s_add_u32 m0, 0x500, s49                                   // 0000000039C4: 807C31FF 00000500
	v_mfma_f32_16x16x32_fp8_fp8 v[88:91], a[76:77], a[28:29], v[88:91]// 0000000039CC: D3F30058 1D62394C
	v_mfma_f32_16x16x32_fp8_fp8 v[88:91], a[78:79], a[30:31], v[88:91]// 0000000039D4: D3F30058 1D623D4E
	buffer_load_dword v45, s[20:23], 0 offen lds               // 0000000039DC: E0511000 8005002D
	s_add_u32 m0, 0, s48                                       // 0000000039E4: 807C3080
	v_mfma_f32_16x16x32_fp8_fp8 v[92:95], a[72:73], a[32:33], v[92:95]// 0000000039E8: D3F3005C 1D724148
	v_mfma_f32_16x16x32_fp8_fp8 v[92:95], a[74:75], a[34:35], v[92:95]// 0000000039F0: D3F3005C 1D72454A
	v_mfma_f32_16x16x32_fp8_fp8 v[92:95], a[76:77], a[36:37], v[92:95]// 0000000039F8: D3F3005C 1D72494C
	v_mfma_f32_16x16x32_fp8_fp8 v[92:95], a[78:79], a[38:39], v[92:95]// 000000003A00: D3F3005C 1D724D4E
	v_mfma_f32_16x16x32_fp8_fp8 v[96:99], a[72:73], a[40:41], v[96:99]// 000000003A08: D3F30060 1D825148
	v_mfma_f32_16x16x32_fp8_fp8 v[96:99], a[74:75], a[42:43], v[96:99]// 000000003A10: D3F30060 1D82554A
	s_add_u32 s60, 0x80, s80                                   // 000000003A18: 803C50FF 00000080
	s_cmp_lt_u32 s60, s81                                      // 000000003A20: BF0A513C
	s_cselect_b32 s83, s83, 0                                  // 000000003A24: 85538053
	v_mfma_f32_16x16x32_fp8_fp8 v[96:99], a[76:77], a[44:45], v[96:99]// 000000003A28: D3F30060 1D82594C
	v_mfma_f32_16x16x32_fp8_fp8 v[96:99], a[78:79], a[46:47], v[96:99]// 000000003A30: D3F30060 1D825D4E
	s_waitcnt vmcnt(6)                                         // 000000003A38: BF8C0F76
	v_mfma_f32_16x16x32_fp8_fp8 v[100:103], a[80:81], a[24:25], v[100:103]// 000000003A3C: D3F30064 1D923150
	v_mfma_f32_16x16x32_fp8_fp8 v[100:103], a[82:83], a[26:27], v[100:103]// 000000003A44: D3F30064 1D923552
	buffer_load_dwordx4 a[48:51], v46, s[24:27], 0 offen       // 000000003A4C: E05C1000 8086302E
	v_mfma_f32_16x16x32_fp8_fp8 v[100:103], a[84:85], a[28:29], v[100:103]// 000000003A54: D3F30064 1D923954
	v_mfma_f32_16x16x32_fp8_fp8 v[100:103], a[86:87], a[30:31], v[100:103]// 000000003A5C: D3F30064 1D923D56
	ds_read_b128 a[0:3], v2                                    // 000000003A64: DBFE0000 00000002
	ds_read_b128 a[4:7], v2 offset:64                          // 000000003A6C: DBFE0040 04000002
	v_mfma_f32_16x16x32_fp8_fp8 v[112:115], a[88:89], a[24:25], v[112:115]// 000000003A74: D3F30070 1DC23158
	v_mfma_f32_16x16x32_fp8_fp8 v[112:115], a[90:91], a[26:27], v[112:115]// 000000003A7C: D3F30070 1DC2355A
	buffer_load_dwordx4 a[52:55], v46, s[24:27], 0 offen offset:1024// 000000003A84: E05C1400 8086342E
	v_mfma_f32_16x16x32_fp8_fp8 v[112:115], a[92:93], a[28:29], v[112:115]// 000000003A8C: D3F30070 1DC2395C
	v_mfma_f32_16x16x32_fp8_fp8 v[112:115], a[94:95], a[30:31], v[112:115]// 000000003A94: D3F30070 1DC23D5E
	ds_read_b128 a[8:11], v2 offset:512                        // 000000003A9C: DBFE0200 08000002
	ds_read_b128 a[12:15], v2 offset:576                       // 000000003AA4: DBFE0240 0C000002
	v_mfma_f32_16x16x32_fp8_fp8 v[124:127], a[96:97], a[24:25], v[124:127]// 000000003AAC: D3F3007C 1DF23160
	v_mfma_f32_16x16x32_fp8_fp8 v[124:127], a[98:99], a[26:27], v[124:127]// 000000003AB4: D3F3007C 1DF23562
	buffer_load_dwordx4 a[56:59], v47, s[24:27], 0 offen       // 000000003ABC: E05C1000 8086382F
	v_mfma_f32_16x16x32_fp8_fp8 v[124:127], a[100:101], a[28:29], v[124:127]// 000000003AC4: D3F3007C 1DF23964
	v_mfma_f32_16x16x32_fp8_fp8 v[124:127], a[102:103], a[30:31], v[124:127]// 000000003ACC: D3F3007C 1DF23D66
	ds_read_b128 a[16:19], v2 offset:1024                      // 000000003AD4: DBFE0400 10000002
	ds_read_b128 a[20:23], v2 offset:1088                      // 000000003ADC: DBFE0440 14000002
	v_mfma_f32_16x16x32_fp8_fp8 v[136:139], a[104:105], a[24:25], v[136:139]// 000000003AE4: D3F30088 1E223168
	v_mfma_f32_16x16x32_fp8_fp8 v[136:139], a[106:107], a[26:27], v[136:139]// 000000003AEC: D3F30088 1E22356A
	buffer_load_dwordx4 a[60:63], v47, s[24:27], 0 offen offset:1024// 000000003AF4: E05C1400 80863C2F
	v_mfma_f32_16x16x32_fp8_fp8 v[136:139], a[108:109], a[28:29], v[136:139]// 000000003AFC: D3F30088 1E22396C
	v_mfma_f32_16x16x32_fp8_fp8 v[136:139], a[110:111], a[30:31], v[136:139]// 000000003B04: D3F30088 1E223D6E
	v_mfma_f32_16x16x32_fp8_fp8 v[104:107], a[80:81], a[32:33], v[104:107]// 000000003B0C: D3F30068 1DA24150
	v_mfma_f32_16x16x32_fp8_fp8 v[104:107], a[82:83], a[34:35], v[104:107]// 000000003B14: D3F30068 1DA24552
	buffer_load_dwordx4 a[64:67], v48, s[24:27], 0 offen       // 000000003B1C: E05C1000 80864030
	v_mfma_f32_16x16x32_fp8_fp8 v[104:107], a[84:85], a[36:37], v[104:107]// 000000003B24: D3F30068 1DA24954
	v_mfma_f32_16x16x32_fp8_fp8 v[104:107], a[86:87], a[38:39], v[104:107]// 000000003B2C: D3F30068 1DA24D56
	v_mfma_f32_16x16x32_fp8_fp8 v[116:119], a[88:89], a[32:33], v[116:119]// 000000003B34: D3F30074 1DD24158
	v_mfma_f32_16x16x32_fp8_fp8 v[116:119], a[90:91], a[34:35], v[116:119]// 000000003B3C: D3F30074 1DD2455A
	buffer_load_dwordx4 a[68:71], v48, s[24:27], 0 offen offset:1024// 000000003B44: E05C1400 80864430
	v_mfma_f32_16x16x32_fp8_fp8 v[116:119], a[92:93], a[36:37], v[116:119]// 000000003B4C: D3F30074 1DD2495C
	v_mfma_f32_16x16x32_fp8_fp8 v[116:119], a[94:95], a[38:39], v[116:119]// 000000003B54: D3F30074 1DD24D5E
	v_mfma_f32_16x16x32_fp8_fp8 v[128:131], a[96:97], a[32:33], v[128:131]// 000000003B5C: D3F30080 1E024160
	v_mfma_f32_16x16x32_fp8_fp8 v[128:131], a[98:99], a[34:35], v[128:131]// 000000003B64: D3F30080 1E024562
	buffer_load_dwordx4 a[72:75], v49, s[24:27], 0 offen       // 000000003B6C: E05C1000 80864831
	v_mfma_f32_16x16x32_fp8_fp8 v[128:131], a[100:101], a[36:37], v[128:131]// 000000003B74: D3F30080 1E024964
	v_mfma_f32_16x16x32_fp8_fp8 v[128:131], a[102:103], a[38:39], v[128:131]// 000000003B7C: D3F30080 1E024D66
	v_mfma_f32_16x16x32_fp8_fp8 v[140:143], a[104:105], a[32:33], v[140:143]// 000000003B84: D3F3008C 1E324168
	v_mfma_f32_16x16x32_fp8_fp8 v[140:143], a[106:107], a[34:35], v[140:143]// 000000003B8C: D3F3008C 1E32456A
	buffer_load_dwordx4 a[76:79], v49, s[24:27], 0 offen offset:1024// 000000003B94: E05C1400 80864C31
	v_mfma_f32_16x16x32_fp8_fp8 v[140:143], a[108:109], a[36:37], v[140:143]// 000000003B9C: D3F3008C 1E32496C
	v_mfma_f32_16x16x32_fp8_fp8 v[140:143], a[110:111], a[38:39], v[140:143]// 000000003BA4: D3F3008C 1E324D6E
	v_mfma_f32_16x16x32_fp8_fp8 v[108:111], a[80:81], a[40:41], v[108:111]// 000000003BAC: D3F3006C 1DB25150
	v_mfma_f32_16x16x32_fp8_fp8 v[108:111], a[82:83], a[42:43], v[108:111]// 000000003BB4: D3F3006C 1DB25552
	v_mfma_f32_16x16x32_fp8_fp8 v[108:111], a[84:85], a[44:45], v[108:111]// 000000003BBC: D3F3006C 1DB25954
	v_mfma_f32_16x16x32_fp8_fp8 v[108:111], a[86:87], a[46:47], v[108:111]// 000000003BC4: D3F3006C 1DB25D56
	v_mfma_f32_16x16x32_fp8_fp8 v[120:123], a[88:89], a[40:41], v[120:123]// 000000003BCC: D3F30078 1DE25158
	v_mfma_f32_16x16x32_fp8_fp8 v[120:123], a[90:91], a[42:43], v[120:123]// 000000003BD4: D3F30078 1DE2555A
	v_mfma_f32_16x16x32_fp8_fp8 v[120:123], a[92:93], a[44:45], v[120:123]// 000000003BDC: D3F30078 1DE2595C
	v_mfma_f32_16x16x32_fp8_fp8 v[120:123], a[94:95], a[46:47], v[120:123]// 000000003BE4: D3F30078 1DE25D5E
	v_mfma_f32_16x16x32_fp8_fp8 v[132:135], a[96:97], a[40:41], v[132:135]// 000000003BEC: D3F30084 1E125160
	v_mfma_f32_16x16x32_fp8_fp8 v[132:135], a[98:99], a[42:43], v[132:135]// 000000003BF4: D3F30084 1E125562
	v_mfma_f32_16x16x32_fp8_fp8 v[132:135], a[100:101], a[44:45], v[132:135]// 000000003BFC: D3F30084 1E125964
	s_add_u32 s60, 0x180, s80                                  // 000000003C04: 803C50FF 00000180
	s_cmp_lt_u32 s60, s81                                      // 000000003C0C: BF0A513C
	s_cselect_b32 s57, s57, 0                                  // 000000003C10: 85398039
	v_mfma_f32_16x16x32_fp8_fp8 v[132:135], a[102:103], a[46:47], v[132:135]// 000000003C14: D3F30084 1E125D66
	s_add_u32 s60, 0x100, s80                                  // 000000003C1C: 803C50FF 00000100
	s_cmp_lt_u32 s60, s81                                      // 000000003C24: BF0A513C
	s_cselect_b32 s58, s58, 0                                  // 000000003C28: 853A803A
	v_mfma_f32_16x16x32_fp8_fp8 v[144:147], a[104:105], a[40:41], v[144:147]// 000000003C2C: D3F30090 1E425168
	s_add_u32 s24, s58, s24                                    // 000000003C34: 8018183A
	s_addc_u32 s25, 0, s25                                     // 000000003C38: 82191980
	v_mfma_f32_16x16x32_fp8_fp8 v[144:147], a[106:107], a[42:43], v[144:147]// 000000003C3C: D3F30090 1E42556A
	s_add_u32 s20, s57, s20                                    // 000000003C44: 80141439
	s_addc_u32 s21, 0, s21                                     // 000000003C48: 82151580
	v_mfma_f32_16x16x32_fp8_fp8 v[144:147], a[108:109], a[44:45], v[144:147]// 000000003C4C: D3F30090 1E42596C
	s_add_u32 s84, s83, s84                                    // 000000003C54: 80545453
	s_addc_u32 s85, 0, s85                                     // 000000003C58: 82555580
	v_mfma_f32_16x16x32_fp8_fp8 v[144:147], a[110:111], a[46:47], v[144:147]// 000000003C5C: D3F30090 1E425D6E
	s_addk_i32 s80, 0x80                                       // 000000003C64: B7500080
	s_cmp_lt_i32 s80, s81                                      // 000000003C68: BF045150
	s_cbranch_scc0 label_049D                                  // 000000003C6C: BF840001
	s_branch label_0260                                        // 000000003C70: BF82FDC3

0000000000003c74 <label_049D>:
	v_mul_f32_dpp v52, v24, v52 row_newbcast:0 row_mask:0xf bank_mask:0xf// 000000003C74: 0A6868FA FF015018
	v_mul_f32_dpp v53, v24, v53 row_newbcast:1 row_mask:0xf bank_mask:0xf// 000000003C7C: 0A6A6AFA FF015118
	v_mul_f32_dpp v54, v24, v54 row_newbcast:2 row_mask:0xf bank_mask:0xf// 000000003C84: 0A6C6CFA FF015218
	v_mul_f32_dpp v55, v24, v55 row_newbcast:3 row_mask:0xf bank_mask:0xf// 000000003C8C: 0A6E6EFA FF015318
	v_mul_f32_dpp v56, v24, v56 row_newbcast:0 row_mask:0xf bank_mask:0xf// 000000003C94: 0A7070FA FF015018
	v_mul_f32_dpp v57, v24, v57 row_newbcast:1 row_mask:0xf bank_mask:0xf// 000000003C9C: 0A7272FA FF015118
	v_mul_f32_dpp v58, v24, v58 row_newbcast:2 row_mask:0xf bank_mask:0xf// 000000003CA4: 0A7474FA FF015218
	v_mul_f32_dpp v59, v24, v59 row_newbcast:3 row_mask:0xf bank_mask:0xf// 000000003CAC: 0A7676FA FF015318
	v_mul_f32_dpp v60, v24, v60 row_newbcast:0 row_mask:0xf bank_mask:0xf// 000000003CB4: 0A7878FA FF015018
	v_mul_f32_dpp v61, v24, v61 row_newbcast:1 row_mask:0xf bank_mask:0xf// 000000003CBC: 0A7A7AFA FF015118
	v_mul_f32_dpp v62, v24, v62 row_newbcast:2 row_mask:0xf bank_mask:0xf// 000000003CC4: 0A7C7CFA FF015218
	v_mul_f32_dpp v63, v24, v63 row_newbcast:3 row_mask:0xf bank_mask:0xf// 000000003CCC: 0A7E7EFA FF015318
	v_mul_f32_dpp v64, v24, v64 row_newbcast:4 row_mask:0xf bank_mask:0xf// 000000003CD4: 0A8080FA FF015418
	v_mul_f32_dpp v65, v24, v65 row_newbcast:5 row_mask:0xf bank_mask:0xf// 000000003CDC: 0A8282FA FF015518
	v_mul_f32_dpp v66, v24, v66 row_newbcast:6 row_mask:0xf bank_mask:0xf// 000000003CE4: 0A8484FA FF015618
	v_mul_f32_dpp v67, v24, v67 row_newbcast:7 row_mask:0xf bank_mask:0xf// 000000003CEC: 0A8686FA FF015718
	v_mul_f32_dpp v68, v24, v68 row_newbcast:4 row_mask:0xf bank_mask:0xf// 000000003CF4: 0A8888FA FF015418
	v_mul_f32_dpp v69, v24, v69 row_newbcast:5 row_mask:0xf bank_mask:0xf// 000000003CFC: 0A8A8AFA FF015518
	v_mul_f32_dpp v70, v24, v70 row_newbcast:6 row_mask:0xf bank_mask:0xf// 000000003D04: 0A8C8CFA FF015618
	v_mul_f32_dpp v71, v24, v71 row_newbcast:7 row_mask:0xf bank_mask:0xf// 000000003D0C: 0A8E8EFA FF015718
	v_mul_f32_dpp v72, v24, v72 row_newbcast:4 row_mask:0xf bank_mask:0xf// 000000003D14: 0A9090FA FF015418
	v_mul_f32_dpp v73, v24, v73 row_newbcast:5 row_mask:0xf bank_mask:0xf// 000000003D1C: 0A9292FA FF015518
	v_mul_f32_dpp v74, v24, v74 row_newbcast:6 row_mask:0xf bank_mask:0xf// 000000003D24: 0A9494FA FF015618
	v_mul_f32_dpp v75, v24, v75 row_newbcast:7 row_mask:0xf bank_mask:0xf// 000000003D2C: 0A9696FA FF015718
	v_mul_f32_dpp v76, v24, v76 row_newbcast:8 row_mask:0xf bank_mask:0xf// 000000003D34: 0A9898FA FF015818
	v_mul_f32_dpp v77, v24, v77 row_newbcast:9 row_mask:0xf bank_mask:0xf// 000000003D3C: 0A9A9AFA FF015918
	v_mul_f32_dpp v78, v24, v78 row_newbcast:10 row_mask:0xf bank_mask:0xf// 000000003D44: 0A9C9CFA FF015A18
	v_mul_f32_dpp v79, v24, v79 row_newbcast:11 row_mask:0xf bank_mask:0xf// 000000003D4C: 0A9E9EFA FF015B18
	v_mul_f32_dpp v80, v24, v80 row_newbcast:8 row_mask:0xf bank_mask:0xf// 000000003D54: 0AA0A0FA FF015818
	v_mul_f32_dpp v81, v24, v81 row_newbcast:9 row_mask:0xf bank_mask:0xf// 000000003D5C: 0AA2A2FA FF015918
	v_mul_f32_dpp v82, v24, v82 row_newbcast:10 row_mask:0xf bank_mask:0xf// 000000003D64: 0AA4A4FA FF015A18
	v_mul_f32_dpp v83, v24, v83 row_newbcast:11 row_mask:0xf bank_mask:0xf// 000000003D6C: 0AA6A6FA FF015B18
	v_mul_f32_dpp v84, v24, v84 row_newbcast:8 row_mask:0xf bank_mask:0xf// 000000003D74: 0AA8A8FA FF015818
	v_mul_f32_dpp v85, v24, v85 row_newbcast:9 row_mask:0xf bank_mask:0xf// 000000003D7C: 0AAAAAFA FF015918
	v_mul_f32_dpp v86, v24, v86 row_newbcast:10 row_mask:0xf bank_mask:0xf// 000000003D84: 0AACACFA FF015A18
	v_mul_f32_dpp v87, v24, v87 row_newbcast:11 row_mask:0xf bank_mask:0xf// 000000003D8C: 0AAEAEFA FF015B18
	v_mul_f32_dpp v88, v24, v88 row_newbcast:12 row_mask:0xf bank_mask:0xf// 000000003D94: 0AB0B0FA FF015C18
	v_mul_f32_dpp v89, v24, v89 row_newbcast:13 row_mask:0xf bank_mask:0xf// 000000003D9C: 0AB2B2FA FF015D18
	v_mul_f32_dpp v90, v24, v90 row_newbcast:14 row_mask:0xf bank_mask:0xf// 000000003DA4: 0AB4B4FA FF015E18
	v_mul_f32_dpp v91, v24, v91 row_newbcast:15 row_mask:0xf bank_mask:0xf// 000000003DAC: 0AB6B6FA FF015F18
	v_mul_f32_dpp v92, v24, v92 row_newbcast:12 row_mask:0xf bank_mask:0xf// 000000003DB4: 0AB8B8FA FF015C18
	v_mul_f32_dpp v93, v24, v93 row_newbcast:13 row_mask:0xf bank_mask:0xf// 000000003DBC: 0ABABAFA FF015D18
	v_mul_f32_dpp v94, v24, v94 row_newbcast:14 row_mask:0xf bank_mask:0xf// 000000003DC4: 0ABCBCFA FF015E18
	v_mul_f32_dpp v95, v24, v95 row_newbcast:15 row_mask:0xf bank_mask:0xf// 000000003DCC: 0ABEBEFA FF015F18
	v_mul_f32_dpp v96, v24, v96 row_newbcast:12 row_mask:0xf bank_mask:0xf// 000000003DD4: 0AC0C0FA FF015C18
	v_mul_f32_dpp v97, v24, v97 row_newbcast:13 row_mask:0xf bank_mask:0xf// 000000003DDC: 0AC2C2FA FF015D18
	v_mul_f32_dpp v98, v24, v98 row_newbcast:14 row_mask:0xf bank_mask:0xf// 000000003DE4: 0AC4C4FA FF015E18
	v_mul_f32_dpp v99, v24, v99 row_newbcast:15 row_mask:0xf bank_mask:0xf// 000000003DEC: 0AC6C6FA FF015F18
	v_mul_f32_dpp v100, v26, v100 row_newbcast:0 row_mask:0xf bank_mask:0xf// 000000003DF4: 0AC8C8FA FF01501A
	v_mul_f32_dpp v101, v26, v101 row_newbcast:1 row_mask:0xf bank_mask:0xf// 000000003DFC: 0ACACAFA FF01511A
	v_mul_f32_dpp v102, v26, v102 row_newbcast:2 row_mask:0xf bank_mask:0xf// 000000003E04: 0ACCCCFA FF01521A
	v_mul_f32_dpp v103, v26, v103 row_newbcast:3 row_mask:0xf bank_mask:0xf// 000000003E0C: 0ACECEFA FF01531A
	v_mul_f32_dpp v104, v26, v104 row_newbcast:0 row_mask:0xf bank_mask:0xf// 000000003E14: 0AD0D0FA FF01501A
	v_mul_f32_dpp v105, v26, v105 row_newbcast:1 row_mask:0xf bank_mask:0xf// 000000003E1C: 0AD2D2FA FF01511A
	v_mul_f32_dpp v106, v26, v106 row_newbcast:2 row_mask:0xf bank_mask:0xf// 000000003E24: 0AD4D4FA FF01521A
	v_mul_f32_dpp v107, v26, v107 row_newbcast:3 row_mask:0xf bank_mask:0xf// 000000003E2C: 0AD6D6FA FF01531A
	v_mul_f32_dpp v108, v26, v108 row_newbcast:0 row_mask:0xf bank_mask:0xf// 000000003E34: 0AD8D8FA FF01501A
	v_mul_f32_dpp v109, v26, v109 row_newbcast:1 row_mask:0xf bank_mask:0xf// 000000003E3C: 0ADADAFA FF01511A
	v_mul_f32_dpp v110, v26, v110 row_newbcast:2 row_mask:0xf bank_mask:0xf// 000000003E44: 0ADCDCFA FF01521A
	v_mul_f32_dpp v111, v26, v111 row_newbcast:3 row_mask:0xf bank_mask:0xf// 000000003E4C: 0ADEDEFA FF01531A
	v_mul_f32_dpp v112, v26, v112 row_newbcast:4 row_mask:0xf bank_mask:0xf// 000000003E54: 0AE0E0FA FF01541A
	v_mul_f32_dpp v113, v26, v113 row_newbcast:5 row_mask:0xf bank_mask:0xf// 000000003E5C: 0AE2E2FA FF01551A
	v_mul_f32_dpp v114, v26, v114 row_newbcast:6 row_mask:0xf bank_mask:0xf// 000000003E64: 0AE4E4FA FF01561A
	v_mul_f32_dpp v115, v26, v115 row_newbcast:7 row_mask:0xf bank_mask:0xf// 000000003E6C: 0AE6E6FA FF01571A
	v_mul_f32_dpp v116, v26, v116 row_newbcast:4 row_mask:0xf bank_mask:0xf// 000000003E74: 0AE8E8FA FF01541A
	v_mul_f32_dpp v117, v26, v117 row_newbcast:5 row_mask:0xf bank_mask:0xf// 000000003E7C: 0AEAEAFA FF01551A
	v_mul_f32_dpp v118, v26, v118 row_newbcast:6 row_mask:0xf bank_mask:0xf// 000000003E84: 0AECECFA FF01561A
	v_mul_f32_dpp v119, v26, v119 row_newbcast:7 row_mask:0xf bank_mask:0xf// 000000003E8C: 0AEEEEFA FF01571A
	v_mul_f32_dpp v120, v26, v120 row_newbcast:4 row_mask:0xf bank_mask:0xf// 000000003E94: 0AF0F0FA FF01541A
	v_mul_f32_dpp v121, v26, v121 row_newbcast:5 row_mask:0xf bank_mask:0xf// 000000003E9C: 0AF2F2FA FF01551A
	v_mul_f32_dpp v122, v26, v122 row_newbcast:6 row_mask:0xf bank_mask:0xf// 000000003EA4: 0AF4F4FA FF01561A
	v_mul_f32_dpp v123, v26, v123 row_newbcast:7 row_mask:0xf bank_mask:0xf// 000000003EAC: 0AF6F6FA FF01571A
	v_mul_f32_dpp v124, v26, v124 row_newbcast:8 row_mask:0xf bank_mask:0xf// 000000003EB4: 0AF8F8FA FF01581A
	v_mul_f32_dpp v125, v26, v125 row_newbcast:9 row_mask:0xf bank_mask:0xf// 000000003EBC: 0AFAFAFA FF01591A
	v_mul_f32_dpp v126, v26, v126 row_newbcast:10 row_mask:0xf bank_mask:0xf// 000000003EC4: 0AFCFCFA FF015A1A
	v_mul_f32_dpp v127, v26, v127 row_newbcast:11 row_mask:0xf bank_mask:0xf// 000000003ECC: 0AFEFEFA FF015B1A
	v_mul_f32_dpp v128, v26, v128 row_newbcast:8 row_mask:0xf bank_mask:0xf// 000000003ED4: 0B0100FA FF01581A
	v_mul_f32_dpp v129, v26, v129 row_newbcast:9 row_mask:0xf bank_mask:0xf// 000000003EDC: 0B0302FA FF01591A
	v_mul_f32_dpp v130, v26, v130 row_newbcast:10 row_mask:0xf bank_mask:0xf// 000000003EE4: 0B0504FA FF015A1A
	v_mul_f32_dpp v131, v26, v131 row_newbcast:11 row_mask:0xf bank_mask:0xf// 000000003EEC: 0B0706FA FF015B1A
	v_mul_f32_dpp v132, v26, v132 row_newbcast:8 row_mask:0xf bank_mask:0xf// 000000003EF4: 0B0908FA FF01581A
	v_mul_f32_dpp v133, v26, v133 row_newbcast:9 row_mask:0xf bank_mask:0xf// 000000003EFC: 0B0B0AFA FF01591A
	v_mul_f32_dpp v134, v26, v134 row_newbcast:10 row_mask:0xf bank_mask:0xf// 000000003F04: 0B0D0CFA FF015A1A
	v_mul_f32_dpp v135, v26, v135 row_newbcast:11 row_mask:0xf bank_mask:0xf// 000000003F0C: 0B0F0EFA FF015B1A
	v_mul_f32_dpp v136, v26, v136 row_newbcast:12 row_mask:0xf bank_mask:0xf// 000000003F14: 0B1110FA FF015C1A
	v_mul_f32_dpp v137, v26, v137 row_newbcast:13 row_mask:0xf bank_mask:0xf// 000000003F1C: 0B1312FA FF015D1A
	v_mul_f32_dpp v138, v26, v138 row_newbcast:14 row_mask:0xf bank_mask:0xf// 000000003F24: 0B1514FA FF015E1A
	v_mul_f32_dpp v139, v26, v139 row_newbcast:15 row_mask:0xf bank_mask:0xf// 000000003F2C: 0B1716FA FF015F1A
	v_mul_f32_dpp v140, v26, v140 row_newbcast:12 row_mask:0xf bank_mask:0xf// 000000003F34: 0B1918FA FF015C1A
	v_mul_f32_dpp v141, v26, v141 row_newbcast:13 row_mask:0xf bank_mask:0xf// 000000003F3C: 0B1B1AFA FF015D1A
	v_mul_f32_dpp v142, v26, v142 row_newbcast:14 row_mask:0xf bank_mask:0xf// 000000003F44: 0B1D1CFA FF015E1A
	v_mul_f32_dpp v143, v26, v143 row_newbcast:15 row_mask:0xf bank_mask:0xf// 000000003F4C: 0B1F1EFA FF015F1A
	v_mul_f32_dpp v144, v26, v144 row_newbcast:12 row_mask:0xf bank_mask:0xf// 000000003F54: 0B2120FA FF015C1A
	v_mul_f32_dpp v145, v26, v145 row_newbcast:13 row_mask:0xf bank_mask:0xf// 000000003F5C: 0B2322FA FF015D1A
	v_mul_f32_dpp v146, v26, v146 row_newbcast:14 row_mask:0xf bank_mask:0xf// 000000003F64: 0B2524FA FF015E1A
	v_mul_f32_dpp v147, v26, v147 row_newbcast:15 row_mask:0xf bank_mask:0xf// 000000003F6C: 0B2726FA FF015F1A
	v_mul_f32_e32 v31, v31, v148                               // 000000003F74: 0A3F291F
	v_mov_b32_e32 v4, v31                                      // 000000003F78: 7E08031F
	v_mov_b32_e32 v5, v4                                       // 000000003F7C: 7E0A0304
	v_pk_mul_f32 v[52:53], v[4:5], v[52:53]                    // 000000003F80: D3B14034 18026904
	v_pk_mul_f32 v[100:101], v[4:5], v[100:101]                // 000000003F88: D3B14064 1802C904
	v_pk_mul_f32 v[54:55], v[4:5], v[54:55]                    // 000000003F90: D3B14036 18026D04
	v_pk_mul_f32 v[102:103], v[4:5], v[102:103]                // 000000003F98: D3B14066 1802CD04
	v_pk_mul_f32 v[64:65], v[4:5], v[64:65]                    // 000000003FA0: D3B14040 18028104
	v_pk_mul_f32 v[112:113], v[4:5], v[112:113]                // 000000003FA8: D3B14070 1802E104
	v_pk_mul_f32 v[66:67], v[4:5], v[66:67]                    // 000000003FB0: D3B14042 18028504
	v_pk_mul_f32 v[114:115], v[4:5], v[114:115]                // 000000003FB8: D3B14072 1802E504
	v_pk_mul_f32 v[76:77], v[4:5], v[76:77]                    // 000000003FC0: D3B1404C 18029904
	v_pk_mul_f32 v[124:125], v[4:5], v[124:125]                // 000000003FC8: D3B1407C 1802F904
	v_pk_mul_f32 v[78:79], v[4:5], v[78:79]                    // 000000003FD0: D3B1404E 18029D04
	v_pk_mul_f32 v[126:127], v[4:5], v[126:127]                // 000000003FD8: D3B1407E 1802FD04
	v_pk_mul_f32 v[88:89], v[4:5], v[88:89]                    // 000000003FE0: D3B14058 1802B104
	v_pk_mul_f32 v[136:137], v[4:5], v[136:137]                // 000000003FE8: D3B14088 18031104
	v_pk_mul_f32 v[90:91], v[4:5], v[90:91]                    // 000000003FF0: D3B1405A 1802B504
	v_pk_mul_f32 v[138:139], v[4:5], v[138:139]                // 000000003FF8: D3B1408A 18031504
	v_mul_f32_e32 v32, v32, v149                               // 000000004000: 0A412B20
	v_mov_b32_e32 v4, v32                                      // 000000004004: 7E080320
	v_mov_b32_e32 v5, v4                                       // 000000004008: 7E0A0304
	v_pk_mul_f32 v[56:57], v[4:5], v[56:57]                    // 00000000400C: D3B14038 18027104
	v_pk_mul_f32 v[104:105], v[4:5], v[104:105]                // 000000004014: D3B14068 1802D104
	v_pk_mul_f32 v[58:59], v[4:5], v[58:59]                    // 00000000401C: D3B1403A 18027504
	v_pk_mul_f32 v[106:107], v[4:5], v[106:107]                // 000000004024: D3B1406A 1802D504
	v_pk_mul_f32 v[68:69], v[4:5], v[68:69]                    // 00000000402C: D3B14044 18028904
	v_pk_mul_f32 v[116:117], v[4:5], v[116:117]                // 000000004034: D3B14074 1802E904
	v_pk_mul_f32 v[70:71], v[4:5], v[70:71]                    // 00000000403C: D3B14046 18028D04
	v_pk_mul_f32 v[118:119], v[4:5], v[118:119]                // 000000004044: D3B14076 1802ED04
	v_pk_mul_f32 v[80:81], v[4:5], v[80:81]                    // 00000000404C: D3B14050 1802A104
	v_pk_mul_f32 v[128:129], v[4:5], v[128:129]                // 000000004054: D3B14080 18030104
	v_pk_mul_f32 v[82:83], v[4:5], v[82:83]                    // 00000000405C: D3B14052 1802A504
	v_pk_mul_f32 v[130:131], v[4:5], v[130:131]                // 000000004064: D3B14082 18030504
	v_pk_mul_f32 v[92:93], v[4:5], v[92:93]                    // 00000000406C: D3B1405C 1802B904
	v_pk_mul_f32 v[140:141], v[4:5], v[140:141]                // 000000004074: D3B1408C 18031904
	v_pk_mul_f32 v[94:95], v[4:5], v[94:95]                    // 00000000407C: D3B1405E 1802BD04
	v_pk_mul_f32 v[142:143], v[4:5], v[142:143]                // 000000004084: D3B1408E 18031D04
	v_mul_f32_e32 v33, v33, v150                               // 00000000408C: 0A432D21
	v_mov_b32_e32 v4, v33                                      // 000000004090: 7E080321
	v_mov_b32_e32 v5, v4                                       // 000000004094: 7E0A0304
	v_pk_mul_f32 v[60:61], v[4:5], v[60:61]                    // 000000004098: D3B1403C 18027904
	v_pk_mul_f32 v[108:109], v[4:5], v[108:109]                // 0000000040A0: D3B1406C 1802D904
	v_pk_mul_f32 v[62:63], v[4:5], v[62:63]                    // 0000000040A8: D3B1403E 18027D04
	v_pk_mul_f32 v[110:111], v[4:5], v[110:111]                // 0000000040B0: D3B1406E 1802DD04
	v_pk_mul_f32 v[72:73], v[4:5], v[72:73]                    // 0000000040B8: D3B14048 18029104
	v_pk_mul_f32 v[120:121], v[4:5], v[120:121]                // 0000000040C0: D3B14078 1802F104
	v_pk_mul_f32 v[74:75], v[4:5], v[74:75]                    // 0000000040C8: D3B1404A 18029504
	v_pk_mul_f32 v[122:123], v[4:5], v[122:123]                // 0000000040D0: D3B1407A 1802F504
	v_pk_mul_f32 v[84:85], v[4:5], v[84:85]                    // 0000000040D8: D3B14054 1802A904
	v_pk_mul_f32 v[132:133], v[4:5], v[132:133]                // 0000000040E0: D3B14084 18030904
	v_pk_mul_f32 v[86:87], v[4:5], v[86:87]                    // 0000000040E8: D3B14056 1802AD04
	v_pk_mul_f32 v[134:135], v[4:5], v[134:135]                // 0000000040F0: D3B14086 18030D04
	v_pk_mul_f32 v[96:97], v[4:5], v[96:97]                    // 0000000040F8: D3B14060 1802C104
	v_pk_mul_f32 v[144:145], v[4:5], v[144:145]                // 000000004100: D3B14090 18032104
	v_pk_mul_f32 v[98:99], v[4:5], v[98:99]                    // 000000004108: D3B14062 1802C504
	v_pk_mul_f32 v[146:147], v[4:5], v[146:147]                // 000000004110: D3B14092 18032504
	s_cmp_eq_u32 s88, 0                                        // 000000004118: BF068058
	s_cbranch_scc0 label_0BF5                                  // 00000000411C: BF84062D
	s_cmp_eq_u32 s89, 0                                        // 000000004120: BF068059
	s_cbranch_scc1 label_07AF                                  // 000000004124: BF8501E5
	v_mov_b32_e32 v8, v1                                       // 000000004128: 7E100301
	v_mov_b32_e32 v9, v1                                       // 00000000412C: 7E120301
	s_mov_b32 s60, s6                                          // 000000004130: BEBC0006
	s_mov_b32 s61, s6                                          // 000000004134: BEBD0006
	v_pk_mul_f32 v[4:5], v[52:53], v[52:53]                    // 000000004138: D3B14004 18026934
	v_pk_mul_f32 v[6:7], v[54:55], v[54:55]                    // 000000004140: D3B14006 18026D36
	v_pk_fma_f32 v[4:5], v[4:5], s[78:79], v[8:9]              // 000000004148: D3B04004 1C209D04
	v_pk_fma_f32 v[6:7], v[6:7], s[78:79], v[8:9]              // 000000004150: D3B04006 1C209D06
	v_pk_mul_f32 v[4:5], v[4:5], v[52:53]                      // 000000004158: D3B14004 18026904
	v_pk_mul_f32 v[6:7], v[6:7], v[54:55]                      // 000000004160: D3B14006 18026D06
	v_pk_mul_f32 v[4:5], v[4:5], s[60:61]                      // 000000004168: D3B14004 18007904
	v_pk_mul_f32 v[6:7], v[6:7], s[60:61]                      // 000000004170: D3B14006 18007906
	v_exp_f32_e32 v4, v4                                       // 000000004178: 7E084104
	v_exp_f32_e32 v5, v5                                       // 00000000417C: 7E0A4105
	v_exp_f32_e32 v6, v6                                       // 000000004180: 7E0C4106
	v_exp_f32_e32 v7, v7                                       // 000000004184: 7E0E4107
	v_add_f32_e64 v4, v4, 1.0                                  // 000000004188: D1010004 0001E504
	v_add_f32_e64 v5, v5, 1.0                                  // 000000004190: D1010005 0001E505
	v_add_f32_e64 v6, v6, 1.0                                  // 000000004198: D1010006 0001E506
	v_add_f32_e64 v7, v7, 1.0                                  // 0000000041A0: D1010007 0001E507
	v_rcp_f32_e32 v4, v4                                       // 0000000041A8: 7E084504
	v_rcp_f32_e32 v5, v5                                       // 0000000041AC: 7E0A4505
	v_rcp_f32_e32 v6, v6                                       // 0000000041B0: 7E0C4506
	v_rcp_f32_e32 v7, v7                                       // 0000000041B4: 7E0E4507
	v_mul_f32_e32 v52, v52, v4                                 // 0000000041B8: 0A680934
	v_mul_f32_e32 v53, v53, v5                                 // 0000000041BC: 0A6A0B35
	v_mul_f32_e32 v54, v54, v6                                 // 0000000041C0: 0A6C0D36
	v_mul_f32_e32 v55, v55, v7                                 // 0000000041C4: 0A6E0F37
	v_mul_f32_e32 v52, v52, v100                               // 0000000041C8: 0A68C934
	v_mul_f32_e32 v53, v53, v101                               // 0000000041CC: 0A6ACB35
	v_mul_f32_e32 v54, v54, v102                               // 0000000041D0: 0A6CCD36
	v_mul_f32_e32 v55, v55, v103                               // 0000000041D4: 0A6ECF37
	v_pk_mul_f32 v[4:5], v[56:57], v[56:57]                    // 0000000041D8: D3B14004 18027138
	v_pk_mul_f32 v[6:7], v[58:59], v[58:59]                    // 0000000041E0: D3B14006 1802753A
	v_pk_fma_f32 v[4:5], v[4:5], s[78:79], v[8:9]              // 0000000041E8: D3B04004 1C209D04
	v_pk_fma_f32 v[6:7], v[6:7], s[78:79], v[8:9]              // 0000000041F0: D3B04006 1C209D06
	v_pk_mul_f32 v[4:5], v[4:5], v[56:57]                      // 0000000041F8: D3B14004 18027104
	v_pk_mul_f32 v[6:7], v[6:7], v[58:59]                      // 000000004200: D3B14006 18027506
	v_pk_mul_f32 v[4:5], v[4:5], s[60:61]                      // 000000004208: D3B14004 18007904
	v_pk_mul_f32 v[6:7], v[6:7], s[60:61]                      // 000000004210: D3B14006 18007906
	v_exp_f32_e32 v4, v4                                       // 000000004218: 7E084104
	v_exp_f32_e32 v5, v5                                       // 00000000421C: 7E0A4105
	v_exp_f32_e32 v6, v6                                       // 000000004220: 7E0C4106
	v_exp_f32_e32 v7, v7                                       // 000000004224: 7E0E4107
	v_add_f32_e64 v4, v4, 1.0                                  // 000000004228: D1010004 0001E504
	v_add_f32_e64 v5, v5, 1.0                                  // 000000004230: D1010005 0001E505
	v_add_f32_e64 v6, v6, 1.0                                  // 000000004238: D1010006 0001E506
	v_add_f32_e64 v7, v7, 1.0                                  // 000000004240: D1010007 0001E507
	v_rcp_f32_e32 v4, v4                                       // 000000004248: 7E084504
	v_rcp_f32_e32 v5, v5                                       // 00000000424C: 7E0A4505
	v_rcp_f32_e32 v6, v6                                       // 000000004250: 7E0C4506
	v_rcp_f32_e32 v7, v7                                       // 000000004254: 7E0E4507
	v_mul_f32_e32 v56, v56, v4                                 // 000000004258: 0A700938
	v_mul_f32_e32 v57, v57, v5                                 // 00000000425C: 0A720B39
	v_mul_f32_e32 v58, v58, v6                                 // 000000004260: 0A740D3A
	v_mul_f32_e32 v59, v59, v7                                 // 000000004264: 0A760F3B
	v_mul_f32_e32 v56, v56, v104                               // 000000004268: 0A70D138
	v_mul_f32_e32 v57, v57, v105                               // 00000000426C: 0A72D339
	v_mul_f32_e32 v58, v58, v106                               // 000000004270: 0A74D53A
	v_mul_f32_e32 v59, v59, v107                               // 000000004274: 0A76D73B
	v_pk_mul_f32 v[4:5], v[60:61], v[60:61]                    // 000000004278: D3B14004 1802793C
	v_pk_mul_f32 v[6:7], v[62:63], v[62:63]                    // 000000004280: D3B14006 18027D3E
	v_pk_fma_f32 v[4:5], v[4:5], s[78:79], v[8:9]              // 000000004288: D3B04004 1C209D04
	v_pk_fma_f32 v[6:7], v[6:7], s[78:79], v[8:9]              // 000000004290: D3B04006 1C209D06
	v_pk_mul_f32 v[4:5], v[4:5], v[60:61]                      // 000000004298: D3B14004 18027904
	v_pk_mul_f32 v[6:7], v[6:7], v[62:63]                      // 0000000042A0: D3B14006 18027D06
	v_pk_mul_f32 v[4:5], v[4:5], s[60:61]                      // 0000000042A8: D3B14004 18007904
	v_pk_mul_f32 v[6:7], v[6:7], s[60:61]                      // 0000000042B0: D3B14006 18007906
	v_exp_f32_e32 v4, v4                                       // 0000000042B8: 7E084104
	v_exp_f32_e32 v5, v5                                       // 0000000042BC: 7E0A4105
	v_exp_f32_e32 v6, v6                                       // 0000000042C0: 7E0C4106
	v_exp_f32_e32 v7, v7                                       // 0000000042C4: 7E0E4107
	v_add_f32_e64 v4, v4, 1.0                                  // 0000000042C8: D1010004 0001E504
	v_add_f32_e64 v5, v5, 1.0                                  // 0000000042D0: D1010005 0001E505
	v_add_f32_e64 v6, v6, 1.0                                  // 0000000042D8: D1010006 0001E506
	v_add_f32_e64 v7, v7, 1.0                                  // 0000000042E0: D1010007 0001E507
	v_rcp_f32_e32 v4, v4                                       // 0000000042E8: 7E084504
	v_rcp_f32_e32 v5, v5                                       // 0000000042EC: 7E0A4505
	v_rcp_f32_e32 v6, v6                                       // 0000000042F0: 7E0C4506
	v_rcp_f32_e32 v7, v7                                       // 0000000042F4: 7E0E4507
	v_mul_f32_e32 v60, v60, v4                                 // 0000000042F8: 0A78093C
	v_mul_f32_e32 v61, v61, v5                                 // 0000000042FC: 0A7A0B3D
	v_mul_f32_e32 v62, v62, v6                                 // 000000004300: 0A7C0D3E
	v_mul_f32_e32 v63, v63, v7                                 // 000000004304: 0A7E0F3F
	v_mul_f32_e32 v60, v60, v108                               // 000000004308: 0A78D93C
	v_mul_f32_e32 v61, v61, v109                               // 00000000430C: 0A7ADB3D
	v_mul_f32_e32 v62, v62, v110                               // 000000004310: 0A7CDD3E
	v_mul_f32_e32 v63, v63, v111                               // 000000004314: 0A7EDF3F
	v_pk_mul_f32 v[4:5], v[64:65], v[64:65]                    // 000000004318: D3B14004 18028140
	v_pk_mul_f32 v[6:7], v[66:67], v[66:67]                    // 000000004320: D3B14006 18028542
	v_pk_fma_f32 v[4:5], v[4:5], s[78:79], v[8:9]              // 000000004328: D3B04004 1C209D04
	v_pk_fma_f32 v[6:7], v[6:7], s[78:79], v[8:9]              // 000000004330: D3B04006 1C209D06
	v_pk_mul_f32 v[4:5], v[4:5], v[64:65]                      // 000000004338: D3B14004 18028104
	v_pk_mul_f32 v[6:7], v[6:7], v[66:67]                      // 000000004340: D3B14006 18028506
	v_pk_mul_f32 v[4:5], v[4:5], s[60:61]                      // 000000004348: D3B14004 18007904
	v_pk_mul_f32 v[6:7], v[6:7], s[60:61]                      // 000000004350: D3B14006 18007906
	v_exp_f32_e32 v4, v4                                       // 000000004358: 7E084104
	v_exp_f32_e32 v5, v5                                       // 00000000435C: 7E0A4105
	v_exp_f32_e32 v6, v6                                       // 000000004360: 7E0C4106
	v_exp_f32_e32 v7, v7                                       // 000000004364: 7E0E4107
	v_add_f32_e64 v4, v4, 1.0                                  // 000000004368: D1010004 0001E504
	v_add_f32_e64 v5, v5, 1.0                                  // 000000004370: D1010005 0001E505
	v_add_f32_e64 v6, v6, 1.0                                  // 000000004378: D1010006 0001E506
	v_add_f32_e64 v7, v7, 1.0                                  // 000000004380: D1010007 0001E507
	v_rcp_f32_e32 v4, v4                                       // 000000004388: 7E084504
	v_rcp_f32_e32 v5, v5                                       // 00000000438C: 7E0A4505
	v_rcp_f32_e32 v6, v6                                       // 000000004390: 7E0C4506
	v_rcp_f32_e32 v7, v7                                       // 000000004394: 7E0E4507
	v_mul_f32_e32 v64, v64, v4                                 // 000000004398: 0A800940
	v_mul_f32_e32 v65, v65, v5                                 // 00000000439C: 0A820B41
	v_mul_f32_e32 v66, v66, v6                                 // 0000000043A0: 0A840D42
	v_mul_f32_e32 v67, v67, v7                                 // 0000000043A4: 0A860F43
	v_mul_f32_e32 v64, v64, v112                               // 0000000043A8: 0A80E140
	v_mul_f32_e32 v65, v65, v113                               // 0000000043AC: 0A82E341
	v_mul_f32_e32 v66, v66, v114                               // 0000000043B0: 0A84E542
	v_mul_f32_e32 v67, v67, v115                               // 0000000043B4: 0A86E743
	v_pk_mul_f32 v[4:5], v[68:69], v[68:69]                    // 0000000043B8: D3B14004 18028944
	v_pk_mul_f32 v[6:7], v[70:71], v[70:71]                    // 0000000043C0: D3B14006 18028D46
	v_pk_fma_f32 v[4:5], v[4:5], s[78:79], v[8:9]              // 0000000043C8: D3B04004 1C209D04
	v_pk_fma_f32 v[6:7], v[6:7], s[78:79], v[8:9]              // 0000000043D0: D3B04006 1C209D06
	v_pk_mul_f32 v[4:5], v[4:5], v[68:69]                      // 0000000043D8: D3B14004 18028904
	v_pk_mul_f32 v[6:7], v[6:7], v[70:71]                      // 0000000043E0: D3B14006 18028D06
	v_pk_mul_f32 v[4:5], v[4:5], s[60:61]                      // 0000000043E8: D3B14004 18007904
	v_pk_mul_f32 v[6:7], v[6:7], s[60:61]                      // 0000000043F0: D3B14006 18007906
	v_exp_f32_e32 v4, v4                                       // 0000000043F8: 7E084104
	v_exp_f32_e32 v5, v5                                       // 0000000043FC: 7E0A4105
	v_exp_f32_e32 v6, v6                                       // 000000004400: 7E0C4106
	v_exp_f32_e32 v7, v7                                       // 000000004404: 7E0E4107
	v_add_f32_e64 v4, v4, 1.0                                  // 000000004408: D1010004 0001E504
	v_add_f32_e64 v5, v5, 1.0                                  // 000000004410: D1010005 0001E505
	v_add_f32_e64 v6, v6, 1.0                                  // 000000004418: D1010006 0001E506
	v_add_f32_e64 v7, v7, 1.0                                  // 000000004420: D1010007 0001E507
	v_rcp_f32_e32 v4, v4                                       // 000000004428: 7E084504
	v_rcp_f32_e32 v5, v5                                       // 00000000442C: 7E0A4505
	v_rcp_f32_e32 v6, v6                                       // 000000004430: 7E0C4506
	v_rcp_f32_e32 v7, v7                                       // 000000004434: 7E0E4507
	v_mul_f32_e32 v68, v68, v4                                 // 000000004438: 0A880944
	v_mul_f32_e32 v69, v69, v5                                 // 00000000443C: 0A8A0B45
	v_mul_f32_e32 v70, v70, v6                                 // 000000004440: 0A8C0D46
	v_mul_f32_e32 v71, v71, v7                                 // 000000004444: 0A8E0F47
	v_mul_f32_e32 v68, v68, v116                               // 000000004448: 0A88E944
	v_mul_f32_e32 v69, v69, v117                               // 00000000444C: 0A8AEB45
	v_mul_f32_e32 v70, v70, v118                               // 000000004450: 0A8CED46
	v_mul_f32_e32 v71, v71, v119                               // 000000004454: 0A8EEF47
	v_pk_mul_f32 v[4:5], v[72:73], v[72:73]                    // 000000004458: D3B14004 18029148
	v_pk_mul_f32 v[6:7], v[74:75], v[74:75]                    // 000000004460: D3B14006 1802954A
	v_pk_fma_f32 v[4:5], v[4:5], s[78:79], v[8:9]              // 000000004468: D3B04004 1C209D04
	v_pk_fma_f32 v[6:7], v[6:7], s[78:79], v[8:9]              // 000000004470: D3B04006 1C209D06
	v_pk_mul_f32 v[4:5], v[4:5], v[72:73]                      // 000000004478: D3B14004 18029104
	v_pk_mul_f32 v[6:7], v[6:7], v[74:75]                      // 000000004480: D3B14006 18029506
	v_pk_mul_f32 v[4:5], v[4:5], s[60:61]                      // 000000004488: D3B14004 18007904
	v_pk_mul_f32 v[6:7], v[6:7], s[60:61]                      // 000000004490: D3B14006 18007906
	v_exp_f32_e32 v4, v4                                       // 000000004498: 7E084104
	v_exp_f32_e32 v5, v5                                       // 00000000449C: 7E0A4105
	v_exp_f32_e32 v6, v6                                       // 0000000044A0: 7E0C4106
	v_exp_f32_e32 v7, v7                                       // 0000000044A4: 7E0E4107
	v_add_f32_e64 v4, v4, 1.0                                  // 0000000044A8: D1010004 0001E504
	v_add_f32_e64 v5, v5, 1.0                                  // 0000000044B0: D1010005 0001E505
	v_add_f32_e64 v6, v6, 1.0                                  // 0000000044B8: D1010006 0001E506
	v_add_f32_e64 v7, v7, 1.0                                  // 0000000044C0: D1010007 0001E507
	v_rcp_f32_e32 v4, v4                                       // 0000000044C8: 7E084504
	v_rcp_f32_e32 v5, v5                                       // 0000000044CC: 7E0A4505
	v_rcp_f32_e32 v6, v6                                       // 0000000044D0: 7E0C4506
	v_rcp_f32_e32 v7, v7                                       // 0000000044D4: 7E0E4507
	v_mul_f32_e32 v72, v72, v4                                 // 0000000044D8: 0A900948
	v_mul_f32_e32 v73, v73, v5                                 // 0000000044DC: 0A920B49
	v_mul_f32_e32 v74, v74, v6                                 // 0000000044E0: 0A940D4A
	v_mul_f32_e32 v75, v75, v7                                 // 0000000044E4: 0A960F4B
	v_mul_f32_e32 v72, v72, v120                               // 0000000044E8: 0A90F148
	v_mul_f32_e32 v73, v73, v121                               // 0000000044EC: 0A92F349
	v_mul_f32_e32 v74, v74, v122                               // 0000000044F0: 0A94F54A
	v_mul_f32_e32 v75, v75, v123                               // 0000000044F4: 0A96F74B
	v_pk_mul_f32 v[4:5], v[76:77], v[76:77]                    // 0000000044F8: D3B14004 1802994C
	v_pk_mul_f32 v[6:7], v[78:79], v[78:79]                    // 000000004500: D3B14006 18029D4E
	v_pk_fma_f32 v[4:5], v[4:5], s[78:79], v[8:9]              // 000000004508: D3B04004 1C209D04
	v_pk_fma_f32 v[6:7], v[6:7], s[78:79], v[8:9]              // 000000004510: D3B04006 1C209D06
	v_pk_mul_f32 v[4:5], v[4:5], v[76:77]                      // 000000004518: D3B14004 18029904
	v_pk_mul_f32 v[6:7], v[6:7], v[78:79]                      // 000000004520: D3B14006 18029D06
	v_pk_mul_f32 v[4:5], v[4:5], s[60:61]                      // 000000004528: D3B14004 18007904
	v_pk_mul_f32 v[6:7], v[6:7], s[60:61]                      // 000000004530: D3B14006 18007906
	v_exp_f32_e32 v4, v4                                       // 000000004538: 7E084104
	v_exp_f32_e32 v5, v5                                       // 00000000453C: 7E0A4105
	v_exp_f32_e32 v6, v6                                       // 000000004540: 7E0C4106
	v_exp_f32_e32 v7, v7                                       // 000000004544: 7E0E4107
	v_add_f32_e64 v4, v4, 1.0                                  // 000000004548: D1010004 0001E504
	v_add_f32_e64 v5, v5, 1.0                                  // 000000004550: D1010005 0001E505
	v_add_f32_e64 v6, v6, 1.0                                  // 000000004558: D1010006 0001E506
	v_add_f32_e64 v7, v7, 1.0                                  // 000000004560: D1010007 0001E507
	v_rcp_f32_e32 v4, v4                                       // 000000004568: 7E084504
	v_rcp_f32_e32 v5, v5                                       // 00000000456C: 7E0A4505
	v_rcp_f32_e32 v6, v6                                       // 000000004570: 7E0C4506
	v_rcp_f32_e32 v7, v7                                       // 000000004574: 7E0E4507
	v_mul_f32_e32 v76, v76, v4                                 // 000000004578: 0A98094C
	v_mul_f32_e32 v77, v77, v5                                 // 00000000457C: 0A9A0B4D
	v_mul_f32_e32 v78, v78, v6                                 // 000000004580: 0A9C0D4E
	v_mul_f32_e32 v79, v79, v7                                 // 000000004584: 0A9E0F4F
	v_mul_f32_e32 v76, v76, v124                               // 000000004588: 0A98F94C
	v_mul_f32_e32 v77, v77, v125                               // 00000000458C: 0A9AFB4D
	v_mul_f32_e32 v78, v78, v126                               // 000000004590: 0A9CFD4E
	v_mul_f32_e32 v79, v79, v127                               // 000000004594: 0A9EFF4F
	v_pk_mul_f32 v[4:5], v[80:81], v[80:81]                    // 000000004598: D3B14004 1802A150
	v_pk_mul_f32 v[6:7], v[82:83], v[82:83]                    // 0000000045A0: D3B14006 1802A552
	v_pk_fma_f32 v[4:5], v[4:5], s[78:79], v[8:9]              // 0000000045A8: D3B04004 1C209D04
	v_pk_fma_f32 v[6:7], v[6:7], s[78:79], v[8:9]              // 0000000045B0: D3B04006 1C209D06
	v_pk_mul_f32 v[4:5], v[4:5], v[80:81]                      // 0000000045B8: D3B14004 1802A104
	v_pk_mul_f32 v[6:7], v[6:7], v[82:83]                      // 0000000045C0: D3B14006 1802A506
	v_pk_mul_f32 v[4:5], v[4:5], s[60:61]                      // 0000000045C8: D3B14004 18007904
	v_pk_mul_f32 v[6:7], v[6:7], s[60:61]                      // 0000000045D0: D3B14006 18007906
	v_exp_f32_e32 v4, v4                                       // 0000000045D8: 7E084104
	v_exp_f32_e32 v5, v5                                       // 0000000045DC: 7E0A4105
	v_exp_f32_e32 v6, v6                                       // 0000000045E0: 7E0C4106
	v_exp_f32_e32 v7, v7                                       // 0000000045E4: 7E0E4107
	v_add_f32_e64 v4, v4, 1.0                                  // 0000000045E8: D1010004 0001E504
	v_add_f32_e64 v5, v5, 1.0                                  // 0000000045F0: D1010005 0001E505
	v_add_f32_e64 v6, v6, 1.0                                  // 0000000045F8: D1010006 0001E506
	v_add_f32_e64 v7, v7, 1.0                                  // 000000004600: D1010007 0001E507
	v_rcp_f32_e32 v4, v4                                       // 000000004608: 7E084504
	v_rcp_f32_e32 v5, v5                                       // 00000000460C: 7E0A4505
	v_rcp_f32_e32 v6, v6                                       // 000000004610: 7E0C4506
	v_rcp_f32_e32 v7, v7                                       // 000000004614: 7E0E4507
	v_mul_f32_e32 v80, v80, v4                                 // 000000004618: 0AA00950
	v_mul_f32_e32 v81, v81, v5                                 // 00000000461C: 0AA20B51
	v_mul_f32_e32 v82, v82, v6                                 // 000000004620: 0AA40D52
	v_mul_f32_e32 v83, v83, v7                                 // 000000004624: 0AA60F53
	v_mul_f32_e32 v80, v80, v128                               // 000000004628: 0AA10150
	v_mul_f32_e32 v81, v81, v129                               // 00000000462C: 0AA30351
	v_mul_f32_e32 v82, v82, v130                               // 000000004630: 0AA50552
	v_mul_f32_e32 v83, v83, v131                               // 000000004634: 0AA70753
	v_pk_mul_f32 v[4:5], v[84:85], v[84:85]                    // 000000004638: D3B14004 1802A954
	v_pk_mul_f32 v[6:7], v[86:87], v[86:87]                    // 000000004640: D3B14006 1802AD56
	v_pk_fma_f32 v[4:5], v[4:5], s[78:79], v[8:9]              // 000000004648: D3B04004 1C209D04
	v_pk_fma_f32 v[6:7], v[6:7], s[78:79], v[8:9]              // 000000004650: D3B04006 1C209D06
	v_pk_mul_f32 v[4:5], v[4:5], v[84:85]                      // 000000004658: D3B14004 1802A904
	v_pk_mul_f32 v[6:7], v[6:7], v[86:87]                      // 000000004660: D3B14006 1802AD06
	v_pk_mul_f32 v[4:5], v[4:5], s[60:61]                      // 000000004668: D3B14004 18007904
	v_pk_mul_f32 v[6:7], v[6:7], s[60:61]                      // 000000004670: D3B14006 18007906
	v_exp_f32_e32 v4, v4                                       // 000000004678: 7E084104
	v_exp_f32_e32 v5, v5                                       // 00000000467C: 7E0A4105
	v_exp_f32_e32 v6, v6                                       // 000000004680: 7E0C4106
	v_exp_f32_e32 v7, v7                                       // 000000004684: 7E0E4107
	v_add_f32_e64 v4, v4, 1.0                                  // 000000004688: D1010004 0001E504
	v_add_f32_e64 v5, v5, 1.0                                  // 000000004690: D1010005 0001E505
	v_add_f32_e64 v6, v6, 1.0                                  // 000000004698: D1010006 0001E506
	v_add_f32_e64 v7, v7, 1.0                                  // 0000000046A0: D1010007 0001E507
	v_rcp_f32_e32 v4, v4                                       // 0000000046A8: 7E084504
	v_rcp_f32_e32 v5, v5                                       // 0000000046AC: 7E0A4505
	v_rcp_f32_e32 v6, v6                                       // 0000000046B0: 7E0C4506
	v_rcp_f32_e32 v7, v7                                       // 0000000046B4: 7E0E4507
	v_mul_f32_e32 v84, v84, v4                                 // 0000000046B8: 0AA80954
	v_mul_f32_e32 v85, v85, v5                                 // 0000000046BC: 0AAA0B55
	v_mul_f32_e32 v86, v86, v6                                 // 0000000046C0: 0AAC0D56
	v_mul_f32_e32 v87, v87, v7                                 // 0000000046C4: 0AAE0F57
	v_mul_f32_e32 v84, v84, v132                               // 0000000046C8: 0AA90954
	v_mul_f32_e32 v85, v85, v133                               // 0000000046CC: 0AAB0B55
	v_mul_f32_e32 v86, v86, v134                               // 0000000046D0: 0AAD0D56
	v_mul_f32_e32 v87, v87, v135                               // 0000000046D4: 0AAF0F57
	v_pk_mul_f32 v[4:5], v[88:89], v[88:89]                    // 0000000046D8: D3B14004 1802B158
	v_pk_mul_f32 v[6:7], v[90:91], v[90:91]                    // 0000000046E0: D3B14006 1802B55A
	v_pk_fma_f32 v[4:5], v[4:5], s[78:79], v[8:9]              // 0000000046E8: D3B04004 1C209D04
	v_pk_fma_f32 v[6:7], v[6:7], s[78:79], v[8:9]              // 0000000046F0: D3B04006 1C209D06
	v_pk_mul_f32 v[4:5], v[4:5], v[88:89]                      // 0000000046F8: D3B14004 1802B104
	v_pk_mul_f32 v[6:7], v[6:7], v[90:91]                      // 000000004700: D3B14006 1802B506
	v_pk_mul_f32 v[4:5], v[4:5], s[60:61]                      // 000000004708: D3B14004 18007904
	v_pk_mul_f32 v[6:7], v[6:7], s[60:61]                      // 000000004710: D3B14006 18007906
	v_exp_f32_e32 v4, v4                                       // 000000004718: 7E084104
	v_exp_f32_e32 v5, v5                                       // 00000000471C: 7E0A4105
	v_exp_f32_e32 v6, v6                                       // 000000004720: 7E0C4106
	v_exp_f32_e32 v7, v7                                       // 000000004724: 7E0E4107
	v_add_f32_e64 v4, v4, 1.0                                  // 000000004728: D1010004 0001E504
	v_add_f32_e64 v5, v5, 1.0                                  // 000000004730: D1010005 0001E505
	v_add_f32_e64 v6, v6, 1.0                                  // 000000004738: D1010006 0001E506
	v_add_f32_e64 v7, v7, 1.0                                  // 000000004740: D1010007 0001E507
	v_rcp_f32_e32 v4, v4                                       // 000000004748: 7E084504
	v_rcp_f32_e32 v5, v5                                       // 00000000474C: 7E0A4505
	v_rcp_f32_e32 v6, v6                                       // 000000004750: 7E0C4506
	v_rcp_f32_e32 v7, v7                                       // 000000004754: 7E0E4507
	v_mul_f32_e32 v88, v88, v4                                 // 000000004758: 0AB00958
	v_mul_f32_e32 v89, v89, v5                                 // 00000000475C: 0AB20B59
	v_mul_f32_e32 v90, v90, v6                                 // 000000004760: 0AB40D5A
	v_mul_f32_e32 v91, v91, v7                                 // 000000004764: 0AB60F5B
	v_mul_f32_e32 v88, v88, v136                               // 000000004768: 0AB11158
	v_mul_f32_e32 v89, v89, v137                               // 00000000476C: 0AB31359
	v_mul_f32_e32 v90, v90, v138                               // 000000004770: 0AB5155A
	v_mul_f32_e32 v91, v91, v139                               // 000000004774: 0AB7175B
	v_pk_mul_f32 v[4:5], v[92:93], v[92:93]                    // 000000004778: D3B14004 1802B95C
	v_pk_mul_f32 v[6:7], v[94:95], v[94:95]                    // 000000004780: D3B14006 1802BD5E
	v_pk_fma_f32 v[4:5], v[4:5], s[78:79], v[8:9]              // 000000004788: D3B04004 1C209D04
	v_pk_fma_f32 v[6:7], v[6:7], s[78:79], v[8:9]              // 000000004790: D3B04006 1C209D06
	v_pk_mul_f32 v[4:5], v[4:5], v[92:93]                      // 000000004798: D3B14004 1802B904
	v_pk_mul_f32 v[6:7], v[6:7], v[94:95]                      // 0000000047A0: D3B14006 1802BD06
	v_pk_mul_f32 v[4:5], v[4:5], s[60:61]                      // 0000000047A8: D3B14004 18007904
	v_pk_mul_f32 v[6:7], v[6:7], s[60:61]                      // 0000000047B0: D3B14006 18007906
	v_exp_f32_e32 v4, v4                                       // 0000000047B8: 7E084104
	v_exp_f32_e32 v5, v5                                       // 0000000047BC: 7E0A4105
	v_exp_f32_e32 v6, v6                                       // 0000000047C0: 7E0C4106
	v_exp_f32_e32 v7, v7                                       // 0000000047C4: 7E0E4107
	v_add_f32_e64 v4, v4, 1.0                                  // 0000000047C8: D1010004 0001E504
	v_add_f32_e64 v5, v5, 1.0                                  // 0000000047D0: D1010005 0001E505
	v_add_f32_e64 v6, v6, 1.0                                  // 0000000047D8: D1010006 0001E506
	v_add_f32_e64 v7, v7, 1.0                                  // 0000000047E0: D1010007 0001E507
	v_rcp_f32_e32 v4, v4                                       // 0000000047E8: 7E084504
	v_rcp_f32_e32 v5, v5                                       // 0000000047EC: 7E0A4505
	v_rcp_f32_e32 v6, v6                                       // 0000000047F0: 7E0C4506
	v_rcp_f32_e32 v7, v7                                       // 0000000047F4: 7E0E4507
	v_mul_f32_e32 v92, v92, v4                                 // 0000000047F8: 0AB8095C
	v_mul_f32_e32 v93, v93, v5                                 // 0000000047FC: 0ABA0B5D
	v_mul_f32_e32 v94, v94, v6                                 // 000000004800: 0ABC0D5E
	v_mul_f32_e32 v95, v95, v7                                 // 000000004804: 0ABE0F5F
	v_mul_f32_e32 v92, v92, v140                               // 000000004808: 0AB9195C
	v_mul_f32_e32 v93, v93, v141                               // 00000000480C: 0ABB1B5D
	v_mul_f32_e32 v94, v94, v142                               // 000000004810: 0ABD1D5E
	v_mul_f32_e32 v95, v95, v143                               // 000000004814: 0ABF1F5F
	v_pk_mul_f32 v[4:5], v[96:97], v[96:97]                    // 000000004818: D3B14004 1802C160
	v_pk_mul_f32 v[6:7], v[98:99], v[98:99]                    // 000000004820: D3B14006 1802C562
	v_pk_fma_f32 v[4:5], v[4:5], s[78:79], v[8:9]              // 000000004828: D3B04004 1C209D04
	v_pk_fma_f32 v[6:7], v[6:7], s[78:79], v[8:9]              // 000000004830: D3B04006 1C209D06
	v_pk_mul_f32 v[4:5], v[4:5], v[96:97]                      // 000000004838: D3B14004 1802C104
	v_pk_mul_f32 v[6:7], v[6:7], v[98:99]                      // 000000004840: D3B14006 1802C506
	v_pk_mul_f32 v[4:5], v[4:5], s[60:61]                      // 000000004848: D3B14004 18007904
	v_pk_mul_f32 v[6:7], v[6:7], s[60:61]                      // 000000004850: D3B14006 18007906
	v_exp_f32_e32 v4, v4                                       // 000000004858: 7E084104
	v_exp_f32_e32 v5, v5                                       // 00000000485C: 7E0A4105
	v_exp_f32_e32 v6, v6                                       // 000000004860: 7E0C4106
	v_exp_f32_e32 v7, v7                                       // 000000004864: 7E0E4107
	v_add_f32_e64 v4, v4, 1.0                                  // 000000004868: D1010004 0001E504
	v_add_f32_e64 v5, v5, 1.0                                  // 000000004870: D1010005 0001E505
	v_add_f32_e64 v6, v6, 1.0                                  // 000000004878: D1010006 0001E506
	v_add_f32_e64 v7, v7, 1.0                                  // 000000004880: D1010007 0001E507
	v_rcp_f32_e32 v4, v4                                       // 000000004888: 7E084504
	v_rcp_f32_e32 v5, v5                                       // 00000000488C: 7E0A4505
	v_rcp_f32_e32 v6, v6                                       // 000000004890: 7E0C4506
	v_rcp_f32_e32 v7, v7                                       // 000000004894: 7E0E4507
	v_mul_f32_e32 v96, v96, v4                                 // 000000004898: 0AC00960
	v_mul_f32_e32 v97, v97, v5                                 // 00000000489C: 0AC20B61
	v_mul_f32_e32 v98, v98, v6                                 // 0000000048A0: 0AC40D62
	v_mul_f32_e32 v99, v99, v7                                 // 0000000048A4: 0AC60F63
	v_mul_f32_e32 v96, v96, v144                               // 0000000048A8: 0AC12160
	v_mul_f32_e32 v97, v97, v145                               // 0000000048AC: 0AC32361
	v_mul_f32_e32 v98, v98, v146                               // 0000000048B0: 0AC52562
	v_mul_f32_e32 v99, v99, v147                               // 0000000048B4: 0AC72763
	s_branch label_092F                                        // 0000000048B8: BF820180

00000000000048bc <label_07AF>:
	v_mul_f32_e64 v4, -v52, s6                                 // 0000000048BC: D1050004 20000D34
	v_mul_f32_e64 v5, -v53, s6                                 // 0000000048C4: D1050005 20000D35
	v_mul_f32_e64 v6, -v54, s6                                 // 0000000048CC: D1050006 20000D36
	v_mul_f32_e64 v7, -v55, s6                                 // 0000000048D4: D1050007 20000D37
	v_exp_f32_e32 v4, v4                                       // 0000000048DC: 7E084104
	v_exp_f32_e32 v5, v5                                       // 0000000048E0: 7E0A4105
	v_exp_f32_e32 v6, v6                                       // 0000000048E4: 7E0C4106
	v_exp_f32_e32 v7, v7                                       // 0000000048E8: 7E0E4107
	v_add_f32_e64 v4, v4, 1.0                                  // 0000000048EC: D1010004 0001E504
	v_add_f32_e64 v5, v5, 1.0                                  // 0000000048F4: D1010005 0001E505
	v_add_f32_e64 v6, v6, 1.0                                  // 0000000048FC: D1010006 0001E506
	v_add_f32_e64 v7, v7, 1.0                                  // 000000004904: D1010007 0001E507
	v_rcp_f32_e32 v4, v4                                       // 00000000490C: 7E084504
	v_rcp_f32_e32 v5, v5                                       // 000000004910: 7E0A4505
	v_rcp_f32_e32 v6, v6                                       // 000000004914: 7E0C4506
	v_rcp_f32_e32 v7, v7                                       // 000000004918: 7E0E4507
	v_mul_f32_e32 v52, v52, v4                                 // 00000000491C: 0A680934
	v_mul_f32_e32 v53, v53, v5                                 // 000000004920: 0A6A0B35
	v_mul_f32_e32 v54, v54, v6                                 // 000000004924: 0A6C0D36
	v_mul_f32_e32 v55, v55, v7                                 // 000000004928: 0A6E0F37
	v_mul_f32_e32 v52, v52, v100                               // 00000000492C: 0A68C934
	v_mul_f32_e32 v53, v53, v101                               // 000000004930: 0A6ACB35
	v_mul_f32_e32 v54, v54, v102                               // 000000004934: 0A6CCD36
	v_mul_f32_e32 v55, v55, v103                               // 000000004938: 0A6ECF37
	v_mul_f32_e64 v4, -v56, s6                                 // 00000000493C: D1050004 20000D38
	v_mul_f32_e64 v5, -v57, s6                                 // 000000004944: D1050005 20000D39
	v_mul_f32_e64 v6, -v58, s6                                 // 00000000494C: D1050006 20000D3A
	v_mul_f32_e64 v7, -v59, s6                                 // 000000004954: D1050007 20000D3B
	v_exp_f32_e32 v4, v4                                       // 00000000495C: 7E084104
	v_exp_f32_e32 v5, v5                                       // 000000004960: 7E0A4105
	v_exp_f32_e32 v6, v6                                       // 000000004964: 7E0C4106
	v_exp_f32_e32 v7, v7                                       // 000000004968: 7E0E4107
	v_add_f32_e64 v4, v4, 1.0                                  // 00000000496C: D1010004 0001E504
	v_add_f32_e64 v5, v5, 1.0                                  // 000000004974: D1010005 0001E505
	v_add_f32_e64 v6, v6, 1.0                                  // 00000000497C: D1010006 0001E506
	v_add_f32_e64 v7, v7, 1.0                                  // 000000004984: D1010007 0001E507
	v_rcp_f32_e32 v4, v4                                       // 00000000498C: 7E084504
	v_rcp_f32_e32 v5, v5                                       // 000000004990: 7E0A4505
	v_rcp_f32_e32 v6, v6                                       // 000000004994: 7E0C4506
	v_rcp_f32_e32 v7, v7                                       // 000000004998: 7E0E4507
	v_mul_f32_e32 v56, v56, v4                                 // 00000000499C: 0A700938
	v_mul_f32_e32 v57, v57, v5                                 // 0000000049A0: 0A720B39
	v_mul_f32_e32 v58, v58, v6                                 // 0000000049A4: 0A740D3A
	v_mul_f32_e32 v59, v59, v7                                 // 0000000049A8: 0A760F3B
	v_mul_f32_e32 v56, v56, v104                               // 0000000049AC: 0A70D138
	v_mul_f32_e32 v57, v57, v105                               // 0000000049B0: 0A72D339
	v_mul_f32_e32 v58, v58, v106                               // 0000000049B4: 0A74D53A
	v_mul_f32_e32 v59, v59, v107                               // 0000000049B8: 0A76D73B
	v_mul_f32_e64 v4, -v60, s6                                 // 0000000049BC: D1050004 20000D3C
	v_mul_f32_e64 v5, -v61, s6                                 // 0000000049C4: D1050005 20000D3D
	v_mul_f32_e64 v6, -v62, s6                                 // 0000000049CC: D1050006 20000D3E
	v_mul_f32_e64 v7, -v63, s6                                 // 0000000049D4: D1050007 20000D3F
	v_exp_f32_e32 v4, v4                                       // 0000000049DC: 7E084104
	v_exp_f32_e32 v5, v5                                       // 0000000049E0: 7E0A4105
	v_exp_f32_e32 v6, v6                                       // 0000000049E4: 7E0C4106
	v_exp_f32_e32 v7, v7                                       // 0000000049E8: 7E0E4107
	v_add_f32_e64 v4, v4, 1.0                                  // 0000000049EC: D1010004 0001E504
	v_add_f32_e64 v5, v5, 1.0                                  // 0000000049F4: D1010005 0001E505
	v_add_f32_e64 v6, v6, 1.0                                  // 0000000049FC: D1010006 0001E506
	v_add_f32_e64 v7, v7, 1.0                                  // 000000004A04: D1010007 0001E507
	v_rcp_f32_e32 v4, v4                                       // 000000004A0C: 7E084504
	v_rcp_f32_e32 v5, v5                                       // 000000004A10: 7E0A4505
	v_rcp_f32_e32 v6, v6                                       // 000000004A14: 7E0C4506
	v_rcp_f32_e32 v7, v7                                       // 000000004A18: 7E0E4507
	v_mul_f32_e32 v60, v60, v4                                 // 000000004A1C: 0A78093C
	v_mul_f32_e32 v61, v61, v5                                 // 000000004A20: 0A7A0B3D
	v_mul_f32_e32 v62, v62, v6                                 // 000000004A24: 0A7C0D3E
	v_mul_f32_e32 v63, v63, v7                                 // 000000004A28: 0A7E0F3F
	v_mul_f32_e32 v60, v60, v108                               // 000000004A2C: 0A78D93C
	v_mul_f32_e32 v61, v61, v109                               // 000000004A30: 0A7ADB3D
	v_mul_f32_e32 v62, v62, v110                               // 000000004A34: 0A7CDD3E
	v_mul_f32_e32 v63, v63, v111                               // 000000004A38: 0A7EDF3F
	v_mul_f32_e64 v4, -v64, s6                                 // 000000004A3C: D1050004 20000D40
	v_mul_f32_e64 v5, -v65, s6                                 // 000000004A44: D1050005 20000D41
	v_mul_f32_e64 v6, -v66, s6                                 // 000000004A4C: D1050006 20000D42
	v_mul_f32_e64 v7, -v67, s6                                 // 000000004A54: D1050007 20000D43
	v_exp_f32_e32 v4, v4                                       // 000000004A5C: 7E084104
	v_exp_f32_e32 v5, v5                                       // 000000004A60: 7E0A4105
	v_exp_f32_e32 v6, v6                                       // 000000004A64: 7E0C4106
	v_exp_f32_e32 v7, v7                                       // 000000004A68: 7E0E4107
	v_add_f32_e64 v4, v4, 1.0                                  // 000000004A6C: D1010004 0001E504
	v_add_f32_e64 v5, v5, 1.0                                  // 000000004A74: D1010005 0001E505
	v_add_f32_e64 v6, v6, 1.0                                  // 000000004A7C: D1010006 0001E506
	v_add_f32_e64 v7, v7, 1.0                                  // 000000004A84: D1010007 0001E507
	v_rcp_f32_e32 v4, v4                                       // 000000004A8C: 7E084504
	v_rcp_f32_e32 v5, v5                                       // 000000004A90: 7E0A4505
	v_rcp_f32_e32 v6, v6                                       // 000000004A94: 7E0C4506
	v_rcp_f32_e32 v7, v7                                       // 000000004A98: 7E0E4507
	v_mul_f32_e32 v64, v64, v4                                 // 000000004A9C: 0A800940
	v_mul_f32_e32 v65, v65, v5                                 // 000000004AA0: 0A820B41
	v_mul_f32_e32 v66, v66, v6                                 // 000000004AA4: 0A840D42
	v_mul_f32_e32 v67, v67, v7                                 // 000000004AA8: 0A860F43
	v_mul_f32_e32 v64, v64, v112                               // 000000004AAC: 0A80E140
	v_mul_f32_e32 v65, v65, v113                               // 000000004AB0: 0A82E341
	v_mul_f32_e32 v66, v66, v114                               // 000000004AB4: 0A84E542
	v_mul_f32_e32 v67, v67, v115                               // 000000004AB8: 0A86E743
	v_mul_f32_e64 v4, -v68, s6                                 // 000000004ABC: D1050004 20000D44
	v_mul_f32_e64 v5, -v69, s6                                 // 000000004AC4: D1050005 20000D45
	v_mul_f32_e64 v6, -v70, s6                                 // 000000004ACC: D1050006 20000D46
	v_mul_f32_e64 v7, -v71, s6                                 // 000000004AD4: D1050007 20000D47
	v_exp_f32_e32 v4, v4                                       // 000000004ADC: 7E084104
	v_exp_f32_e32 v5, v5                                       // 000000004AE0: 7E0A4105
	v_exp_f32_e32 v6, v6                                       // 000000004AE4: 7E0C4106
	v_exp_f32_e32 v7, v7                                       // 000000004AE8: 7E0E4107
	v_add_f32_e64 v4, v4, 1.0                                  // 000000004AEC: D1010004 0001E504
	v_add_f32_e64 v5, v5, 1.0                                  // 000000004AF4: D1010005 0001E505
	v_add_f32_e64 v6, v6, 1.0                                  // 000000004AFC: D1010006 0001E506
	v_add_f32_e64 v7, v7, 1.0                                  // 000000004B04: D1010007 0001E507
	v_rcp_f32_e32 v4, v4                                       // 000000004B0C: 7E084504
	v_rcp_f32_e32 v5, v5                                       // 000000004B10: 7E0A4505
	v_rcp_f32_e32 v6, v6                                       // 000000004B14: 7E0C4506
	v_rcp_f32_e32 v7, v7                                       // 000000004B18: 7E0E4507
	v_mul_f32_e32 v68, v68, v4                                 // 000000004B1C: 0A880944
	v_mul_f32_e32 v69, v69, v5                                 // 000000004B20: 0A8A0B45
	v_mul_f32_e32 v70, v70, v6                                 // 000000004B24: 0A8C0D46
	v_mul_f32_e32 v71, v71, v7                                 // 000000004B28: 0A8E0F47
	v_mul_f32_e32 v68, v68, v116                               // 000000004B2C: 0A88E944
	v_mul_f32_e32 v69, v69, v117                               // 000000004B30: 0A8AEB45
	v_mul_f32_e32 v70, v70, v118                               // 000000004B34: 0A8CED46
	v_mul_f32_e32 v71, v71, v119                               // 000000004B38: 0A8EEF47
	v_mul_f32_e64 v4, -v72, s6                                 // 000000004B3C: D1050004 20000D48
	v_mul_f32_e64 v5, -v73, s6                                 // 000000004B44: D1050005 20000D49
	v_mul_f32_e64 v6, -v74, s6                                 // 000000004B4C: D1050006 20000D4A
	v_mul_f32_e64 v7, -v75, s6                                 // 000000004B54: D1050007 20000D4B
	v_exp_f32_e32 v4, v4                                       // 000000004B5C: 7E084104
	v_exp_f32_e32 v5, v5                                       // 000000004B60: 7E0A4105
	v_exp_f32_e32 v6, v6                                       // 000000004B64: 7E0C4106
	v_exp_f32_e32 v7, v7                                       // 000000004B68: 7E0E4107
	v_add_f32_e64 v4, v4, 1.0                                  // 000000004B6C: D1010004 0001E504
	v_add_f32_e64 v5, v5, 1.0                                  // 000000004B74: D1010005 0001E505
	v_add_f32_e64 v6, v6, 1.0                                  // 000000004B7C: D1010006 0001E506
	v_add_f32_e64 v7, v7, 1.0                                  // 000000004B84: D1010007 0001E507
	v_rcp_f32_e32 v4, v4                                       // 000000004B8C: 7E084504
	v_rcp_f32_e32 v5, v5                                       // 000000004B90: 7E0A4505
	v_rcp_f32_e32 v6, v6                                       // 000000004B94: 7E0C4506
	v_rcp_f32_e32 v7, v7                                       // 000000004B98: 7E0E4507
	v_mul_f32_e32 v72, v72, v4                                 // 000000004B9C: 0A900948
	v_mul_f32_e32 v73, v73, v5                                 // 000000004BA0: 0A920B49
	v_mul_f32_e32 v74, v74, v6                                 // 000000004BA4: 0A940D4A
	v_mul_f32_e32 v75, v75, v7                                 // 000000004BA8: 0A960F4B
	v_mul_f32_e32 v72, v72, v120                               // 000000004BAC: 0A90F148
	v_mul_f32_e32 v73, v73, v121                               // 000000004BB0: 0A92F349
	v_mul_f32_e32 v74, v74, v122                               // 000000004BB4: 0A94F54A
	v_mul_f32_e32 v75, v75, v123                               // 000000004BB8: 0A96F74B
	v_mul_f32_e64 v4, -v76, s6                                 // 000000004BBC: D1050004 20000D4C
	v_mul_f32_e64 v5, -v77, s6                                 // 000000004BC4: D1050005 20000D4D
	v_mul_f32_e64 v6, -v78, s6                                 // 000000004BCC: D1050006 20000D4E
	v_mul_f32_e64 v7, -v79, s6                                 // 000000004BD4: D1050007 20000D4F
	v_exp_f32_e32 v4, v4                                       // 000000004BDC: 7E084104
	v_exp_f32_e32 v5, v5                                       // 000000004BE0: 7E0A4105
	v_exp_f32_e32 v6, v6                                       // 000000004BE4: 7E0C4106
	v_exp_f32_e32 v7, v7                                       // 000000004BE8: 7E0E4107
	v_add_f32_e64 v4, v4, 1.0                                  // 000000004BEC: D1010004 0001E504
	v_add_f32_e64 v5, v5, 1.0                                  // 000000004BF4: D1010005 0001E505
	v_add_f32_e64 v6, v6, 1.0                                  // 000000004BFC: D1010006 0001E506
	v_add_f32_e64 v7, v7, 1.0                                  // 000000004C04: D1010007 0001E507
	v_rcp_f32_e32 v4, v4                                       // 000000004C0C: 7E084504
	v_rcp_f32_e32 v5, v5                                       // 000000004C10: 7E0A4505
	v_rcp_f32_e32 v6, v6                                       // 000000004C14: 7E0C4506
	v_rcp_f32_e32 v7, v7                                       // 000000004C18: 7E0E4507
	v_mul_f32_e32 v76, v76, v4                                 // 000000004C1C: 0A98094C
	v_mul_f32_e32 v77, v77, v5                                 // 000000004C20: 0A9A0B4D
	v_mul_f32_e32 v78, v78, v6                                 // 000000004C24: 0A9C0D4E
	v_mul_f32_e32 v79, v79, v7                                 // 000000004C28: 0A9E0F4F
	v_mul_f32_e32 v76, v76, v124                               // 000000004C2C: 0A98F94C
	v_mul_f32_e32 v77, v77, v125                               // 000000004C30: 0A9AFB4D
	v_mul_f32_e32 v78, v78, v126                               // 000000004C34: 0A9CFD4E
	v_mul_f32_e32 v79, v79, v127                               // 000000004C38: 0A9EFF4F
	v_mul_f32_e64 v4, -v80, s6                                 // 000000004C3C: D1050004 20000D50
	v_mul_f32_e64 v5, -v81, s6                                 // 000000004C44: D1050005 20000D51
	v_mul_f32_e64 v6, -v82, s6                                 // 000000004C4C: D1050006 20000D52
	v_mul_f32_e64 v7, -v83, s6                                 // 000000004C54: D1050007 20000D53
	v_exp_f32_e32 v4, v4                                       // 000000004C5C: 7E084104
	v_exp_f32_e32 v5, v5                                       // 000000004C60: 7E0A4105
	v_exp_f32_e32 v6, v6                                       // 000000004C64: 7E0C4106
	v_exp_f32_e32 v7, v7                                       // 000000004C68: 7E0E4107
	v_add_f32_e64 v4, v4, 1.0                                  // 000000004C6C: D1010004 0001E504
	v_add_f32_e64 v5, v5, 1.0                                  // 000000004C74: D1010005 0001E505
	v_add_f32_e64 v6, v6, 1.0                                  // 000000004C7C: D1010006 0001E506
	v_add_f32_e64 v7, v7, 1.0                                  // 000000004C84: D1010007 0001E507
	v_rcp_f32_e32 v4, v4                                       // 000000004C8C: 7E084504
	v_rcp_f32_e32 v5, v5                                       // 000000004C90: 7E0A4505
	v_rcp_f32_e32 v6, v6                                       // 000000004C94: 7E0C4506
	v_rcp_f32_e32 v7, v7                                       // 000000004C98: 7E0E4507
	v_mul_f32_e32 v80, v80, v4                                 // 000000004C9C: 0AA00950
	v_mul_f32_e32 v81, v81, v5                                 // 000000004CA0: 0AA20B51
	v_mul_f32_e32 v82, v82, v6                                 // 000000004CA4: 0AA40D52
	v_mul_f32_e32 v83, v83, v7                                 // 000000004CA8: 0AA60F53
	v_mul_f32_e32 v80, v80, v128                               // 000000004CAC: 0AA10150
	v_mul_f32_e32 v81, v81, v129                               // 000000004CB0: 0AA30351
	v_mul_f32_e32 v82, v82, v130                               // 000000004CB4: 0AA50552
	v_mul_f32_e32 v83, v83, v131                               // 000000004CB8: 0AA70753
	v_mul_f32_e64 v4, -v84, s6                                 // 000000004CBC: D1050004 20000D54
	v_mul_f32_e64 v5, -v85, s6                                 // 000000004CC4: D1050005 20000D55
	v_mul_f32_e64 v6, -v86, s6                                 // 000000004CCC: D1050006 20000D56
	v_mul_f32_e64 v7, -v87, s6                                 // 000000004CD4: D1050007 20000D57
	v_exp_f32_e32 v4, v4                                       // 000000004CDC: 7E084104
	v_exp_f32_e32 v5, v5                                       // 000000004CE0: 7E0A4105
	v_exp_f32_e32 v6, v6                                       // 000000004CE4: 7E0C4106
	v_exp_f32_e32 v7, v7                                       // 000000004CE8: 7E0E4107
	v_add_f32_e64 v4, v4, 1.0                                  // 000000004CEC: D1010004 0001E504
	v_add_f32_e64 v5, v5, 1.0                                  // 000000004CF4: D1010005 0001E505
	v_add_f32_e64 v6, v6, 1.0                                  // 000000004CFC: D1010006 0001E506
	v_add_f32_e64 v7, v7, 1.0                                  // 000000004D04: D1010007 0001E507
	v_rcp_f32_e32 v4, v4                                       // 000000004D0C: 7E084504
	v_rcp_f32_e32 v5, v5                                       // 000000004D10: 7E0A4505
	v_rcp_f32_e32 v6, v6                                       // 000000004D14: 7E0C4506
	v_rcp_f32_e32 v7, v7                                       // 000000004D18: 7E0E4507
	v_mul_f32_e32 v84, v84, v4                                 // 000000004D1C: 0AA80954
	v_mul_f32_e32 v85, v85, v5                                 // 000000004D20: 0AAA0B55
	v_mul_f32_e32 v86, v86, v6                                 // 000000004D24: 0AAC0D56
	v_mul_f32_e32 v87, v87, v7                                 // 000000004D28: 0AAE0F57
	v_mul_f32_e32 v84, v84, v132                               // 000000004D2C: 0AA90954
	v_mul_f32_e32 v85, v85, v133                               // 000000004D30: 0AAB0B55
	v_mul_f32_e32 v86, v86, v134                               // 000000004D34: 0AAD0D56
	v_mul_f32_e32 v87, v87, v135                               // 000000004D38: 0AAF0F57
	v_mul_f32_e64 v4, -v88, s6                                 // 000000004D3C: D1050004 20000D58
	v_mul_f32_e64 v5, -v89, s6                                 // 000000004D44: D1050005 20000D59
	v_mul_f32_e64 v6, -v90, s6                                 // 000000004D4C: D1050006 20000D5A
	v_mul_f32_e64 v7, -v91, s6                                 // 000000004D54: D1050007 20000D5B
	v_exp_f32_e32 v4, v4                                       // 000000004D5C: 7E084104
	v_exp_f32_e32 v5, v5                                       // 000000004D60: 7E0A4105
	v_exp_f32_e32 v6, v6                                       // 000000004D64: 7E0C4106
	v_exp_f32_e32 v7, v7                                       // 000000004D68: 7E0E4107
	v_add_f32_e64 v4, v4, 1.0                                  // 000000004D6C: D1010004 0001E504
	v_add_f32_e64 v5, v5, 1.0                                  // 000000004D74: D1010005 0001E505
	v_add_f32_e64 v6, v6, 1.0                                  // 000000004D7C: D1010006 0001E506
	v_add_f32_e64 v7, v7, 1.0                                  // 000000004D84: D1010007 0001E507
	v_rcp_f32_e32 v4, v4                                       // 000000004D8C: 7E084504
	v_rcp_f32_e32 v5, v5                                       // 000000004D90: 7E0A4505
	v_rcp_f32_e32 v6, v6                                       // 000000004D94: 7E0C4506
	v_rcp_f32_e32 v7, v7                                       // 000000004D98: 7E0E4507
	v_mul_f32_e32 v88, v88, v4                                 // 000000004D9C: 0AB00958
	v_mul_f32_e32 v89, v89, v5                                 // 000000004DA0: 0AB20B59
	v_mul_f32_e32 v90, v90, v6                                 // 000000004DA4: 0AB40D5A
	v_mul_f32_e32 v91, v91, v7                                 // 000000004DA8: 0AB60F5B
	v_mul_f32_e32 v88, v88, v136                               // 000000004DAC: 0AB11158
	v_mul_f32_e32 v89, v89, v137                               // 000000004DB0: 0AB31359
	v_mul_f32_e32 v90, v90, v138                               // 000000004DB4: 0AB5155A
	v_mul_f32_e32 v91, v91, v139                               // 000000004DB8: 0AB7175B
	v_mul_f32_e64 v4, -v92, s6                                 // 000000004DBC: D1050004 20000D5C
	v_mul_f32_e64 v5, -v93, s6                                 // 000000004DC4: D1050005 20000D5D
	v_mul_f32_e64 v6, -v94, s6                                 // 000000004DCC: D1050006 20000D5E
	v_mul_f32_e64 v7, -v95, s6                                 // 000000004DD4: D1050007 20000D5F
	v_exp_f32_e32 v4, v4                                       // 000000004DDC: 7E084104
	v_exp_f32_e32 v5, v5                                       // 000000004DE0: 7E0A4105
	v_exp_f32_e32 v6, v6                                       // 000000004DE4: 7E0C4106
	v_exp_f32_e32 v7, v7                                       // 000000004DE8: 7E0E4107
	v_add_f32_e64 v4, v4, 1.0                                  // 000000004DEC: D1010004 0001E504
	v_add_f32_e64 v5, v5, 1.0                                  // 000000004DF4: D1010005 0001E505
	v_add_f32_e64 v6, v6, 1.0                                  // 000000004DFC: D1010006 0001E506
	v_add_f32_e64 v7, v7, 1.0                                  // 000000004E04: D1010007 0001E507
	v_rcp_f32_e32 v4, v4                                       // 000000004E0C: 7E084504
	v_rcp_f32_e32 v5, v5                                       // 000000004E10: 7E0A4505
	v_rcp_f32_e32 v6, v6                                       // 000000004E14: 7E0C4506
	v_rcp_f32_e32 v7, v7                                       // 000000004E18: 7E0E4507
	v_mul_f32_e32 v92, v92, v4                                 // 000000004E1C: 0AB8095C
	v_mul_f32_e32 v93, v93, v5                                 // 000000004E20: 0ABA0B5D
	v_mul_f32_e32 v94, v94, v6                                 // 000000004E24: 0ABC0D5E
	v_mul_f32_e32 v95, v95, v7                                 // 000000004E28: 0ABE0F5F
	v_mul_f32_e32 v92, v92, v140                               // 000000004E2C: 0AB9195C
	v_mul_f32_e32 v93, v93, v141                               // 000000004E30: 0ABB1B5D
	v_mul_f32_e32 v94, v94, v142                               // 000000004E34: 0ABD1D5E
	v_mul_f32_e32 v95, v95, v143                               // 000000004E38: 0ABF1F5F
	v_mul_f32_e64 v4, -v96, s6                                 // 000000004E3C: D1050004 20000D60
	v_mul_f32_e64 v5, -v97, s6                                 // 000000004E44: D1050005 20000D61
	v_mul_f32_e64 v6, -v98, s6                                 // 000000004E4C: D1050006 20000D62
	v_mul_f32_e64 v7, -v99, s6                                 // 000000004E54: D1050007 20000D63
	v_exp_f32_e32 v4, v4                                       // 000000004E5C: 7E084104
	v_exp_f32_e32 v5, v5                                       // 000000004E60: 7E0A4105
	v_exp_f32_e32 v6, v6                                       // 000000004E64: 7E0C4106
	v_exp_f32_e32 v7, v7                                       // 000000004E68: 7E0E4107
	v_add_f32_e64 v4, v4, 1.0                                  // 000000004E6C: D1010004 0001E504
	v_add_f32_e64 v5, v5, 1.0                                  // 000000004E74: D1010005 0001E505
	v_add_f32_e64 v6, v6, 1.0                                  // 000000004E7C: D1010006 0001E506
	v_add_f32_e64 v7, v7, 1.0                                  // 000000004E84: D1010007 0001E507
	v_rcp_f32_e32 v4, v4                                       // 000000004E8C: 7E084504
	v_rcp_f32_e32 v5, v5                                       // 000000004E90: 7E0A4505
	v_rcp_f32_e32 v6, v6                                       // 000000004E94: 7E0C4506
	v_rcp_f32_e32 v7, v7                                       // 000000004E98: 7E0E4507
	v_mul_f32_e32 v96, v96, v4                                 // 000000004E9C: 0AC00960
	v_mul_f32_e32 v97, v97, v5                                 // 000000004EA0: 0AC20B61
	v_mul_f32_e32 v98, v98, v6                                 // 000000004EA4: 0AC40D62
	v_mul_f32_e32 v99, v99, v7                                 // 000000004EA8: 0AC60F63
	v_mul_f32_e32 v96, v96, v144                               // 000000004EAC: 0AC12160
	v_mul_f32_e32 v97, v97, v145                               // 000000004EB0: 0AC32361
	v_mul_f32_e32 v98, v98, v146                               // 000000004EB4: 0AC52562
	v_mul_f32_e32 v99, v99, v147                               // 000000004EB8: 0AC72763

0000000000004ebc <label_092F>:
	v_cmp_u_f32_e64 s[46:47], v52, v52                         // 000000004EBC: D048002E 00026934
	v_add3_u32 v16, v52, v19, 1                                // 000000004EC4: D1FF0010 02062734
	v_cndmask_b32_e64 v4, v16, v18, s[46:47]                   // 000000004ECC: D1000004 00BA2510
	v_cmp_u_f32_e64 s[46:47], v53, v53                         // 000000004ED4: D048002E 00026B35
	v_add3_u32 v16, v53, v19, 1                                // 000000004EDC: D1FF0010 02062735
	v_cndmask_b32_e64 v5, v16, v18, s[46:47]                   // 000000004EE4: D1000005 00BA2510
	v_perm_b32 v52, v5, v4, s52                                // 000000004EEC: D1ED0034 00D20905
	v_cmp_u_f32_e64 s[46:47], v54, v54                         // 000000004EF4: D048002E 00026D36
	v_add3_u32 v16, v54, v19, 1                                // 000000004EFC: D1FF0010 02062736
	v_cndmask_b32_e64 v4, v16, v18, s[46:47]                   // 000000004F04: D1000004 00BA2510
	v_cmp_u_f32_e64 s[46:47], v55, v55                         // 000000004F0C: D048002E 00026F37
	v_add3_u32 v16, v55, v19, 1                                // 000000004F14: D1FF0010 02062737
	v_cndmask_b32_e64 v5, v16, v18, s[46:47]                   // 000000004F1C: D1000005 00BA2510
	v_perm_b32 v53, v5, v4, s52                                // 000000004F24: D1ED0035 00D20905
	v_cmp_u_f32_e64 s[46:47], v56, v56                         // 000000004F2C: D048002E 00027138
	v_add3_u32 v16, v56, v19, 1                                // 000000004F34: D1FF0010 02062738
	v_cndmask_b32_e64 v4, v16, v18, s[46:47]                   // 000000004F3C: D1000004 00BA2510
	v_cmp_u_f32_e64 s[46:47], v57, v57                         // 000000004F44: D048002E 00027339
	v_add3_u32 v16, v57, v19, 1                                // 000000004F4C: D1FF0010 02062739
	v_cndmask_b32_e64 v5, v16, v18, s[46:47]                   // 000000004F54: D1000005 00BA2510
	v_perm_b32 v54, v5, v4, s52                                // 000000004F5C: D1ED0036 00D20905
	v_cmp_u_f32_e64 s[46:47], v58, v58                         // 000000004F64: D048002E 0002753A
	v_add3_u32 v16, v58, v19, 1                                // 000000004F6C: D1FF0010 0206273A
	v_cndmask_b32_e64 v4, v16, v18, s[46:47]                   // 000000004F74: D1000004 00BA2510
	v_cmp_u_f32_e64 s[46:47], v59, v59                         // 000000004F7C: D048002E 0002773B
	v_add3_u32 v16, v59, v19, 1                                // 000000004F84: D1FF0010 0206273B
	v_cndmask_b32_e64 v5, v16, v18, s[46:47]                   // 000000004F8C: D1000005 00BA2510
	v_perm_b32 v55, v5, v4, s52                                // 000000004F94: D1ED0037 00D20905
	v_cmp_u_f32_e64 s[46:47], v60, v60                         // 000000004F9C: D048002E 0002793C
	v_add3_u32 v16, v60, v19, 1                                // 000000004FA4: D1FF0010 0206273C
	v_cndmask_b32_e64 v4, v16, v18, s[46:47]                   // 000000004FAC: D1000004 00BA2510
	v_cmp_u_f32_e64 s[46:47], v61, v61                         // 000000004FB4: D048002E 00027B3D
	v_add3_u32 v16, v61, v19, 1                                // 000000004FBC: D1FF0010 0206273D
	v_cndmask_b32_e64 v5, v16, v18, s[46:47]                   // 000000004FC4: D1000005 00BA2510
	v_perm_b32 v56, v5, v4, s52                                // 000000004FCC: D1ED0038 00D20905
	v_cmp_u_f32_e64 s[46:47], v62, v62                         // 000000004FD4: D048002E 00027D3E
	v_add3_u32 v16, v62, v19, 1                                // 000000004FDC: D1FF0010 0206273E
	v_cndmask_b32_e64 v4, v16, v18, s[46:47]                   // 000000004FE4: D1000004 00BA2510
	v_cmp_u_f32_e64 s[46:47], v63, v63                         // 000000004FEC: D048002E 00027F3F
	v_add3_u32 v16, v63, v19, 1                                // 000000004FF4: D1FF0010 0206273F
	v_cndmask_b32_e64 v5, v16, v18, s[46:47]                   // 000000004FFC: D1000005 00BA2510
	v_perm_b32 v57, v5, v4, s52                                // 000000005004: D1ED0039 00D20905
	v_cmp_u_f32_e64 s[46:47], v64, v64                         // 00000000500C: D048002E 00028140
	v_add3_u32 v16, v64, v19, 1                                // 000000005014: D1FF0010 02062740
	v_cndmask_b32_e64 v4, v16, v18, s[46:47]                   // 00000000501C: D1000004 00BA2510
	v_cmp_u_f32_e64 s[46:47], v65, v65                         // 000000005024: D048002E 00028341
	v_add3_u32 v16, v65, v19, 1                                // 00000000502C: D1FF0010 02062741
	v_cndmask_b32_e64 v5, v16, v18, s[46:47]                   // 000000005034: D1000005 00BA2510
	v_perm_b32 v58, v5, v4, s52                                // 00000000503C: D1ED003A 00D20905
	v_cmp_u_f32_e64 s[46:47], v66, v66                         // 000000005044: D048002E 00028542
	v_add3_u32 v16, v66, v19, 1                                // 00000000504C: D1FF0010 02062742
	v_cndmask_b32_e64 v4, v16, v18, s[46:47]                   // 000000005054: D1000004 00BA2510
	v_cmp_u_f32_e64 s[46:47], v67, v67                         // 00000000505C: D048002E 00028743
	v_add3_u32 v16, v67, v19, 1                                // 000000005064: D1FF0010 02062743
	v_cndmask_b32_e64 v5, v16, v18, s[46:47]                   // 00000000506C: D1000005 00BA2510
	v_perm_b32 v59, v5, v4, s52                                // 000000005074: D1ED003B 00D20905
	v_cmp_u_f32_e64 s[46:47], v68, v68                         // 00000000507C: D048002E 00028944
	v_add3_u32 v16, v68, v19, 1                                // 000000005084: D1FF0010 02062744
	v_cndmask_b32_e64 v4, v16, v18, s[46:47]                   // 00000000508C: D1000004 00BA2510
	v_cmp_u_f32_e64 s[46:47], v69, v69                         // 000000005094: D048002E 00028B45
	v_add3_u32 v16, v69, v19, 1                                // 00000000509C: D1FF0010 02062745
	v_cndmask_b32_e64 v5, v16, v18, s[46:47]                   // 0000000050A4: D1000005 00BA2510
	v_perm_b32 v60, v5, v4, s52                                // 0000000050AC: D1ED003C 00D20905
	v_cmp_u_f32_e64 s[46:47], v70, v70                         // 0000000050B4: D048002E 00028D46
	v_add3_u32 v16, v70, v19, 1                                // 0000000050BC: D1FF0010 02062746
	v_cndmask_b32_e64 v4, v16, v18, s[46:47]                   // 0000000050C4: D1000004 00BA2510
	v_cmp_u_f32_e64 s[46:47], v71, v71                         // 0000000050CC: D048002E 00028F47
	v_add3_u32 v16, v71, v19, 1                                // 0000000050D4: D1FF0010 02062747
	v_cndmask_b32_e64 v5, v16, v18, s[46:47]                   // 0000000050DC: D1000005 00BA2510
	v_perm_b32 v61, v5, v4, s52                                // 0000000050E4: D1ED003D 00D20905
	v_cmp_u_f32_e64 s[46:47], v72, v72                         // 0000000050EC: D048002E 00029148
	v_add3_u32 v16, v72, v19, 1                                // 0000000050F4: D1FF0010 02062748
	v_cndmask_b32_e64 v4, v16, v18, s[46:47]                   // 0000000050FC: D1000004 00BA2510
	v_cmp_u_f32_e64 s[46:47], v73, v73                         // 000000005104: D048002E 00029349
	v_add3_u32 v16, v73, v19, 1                                // 00000000510C: D1FF0010 02062749
	v_cndmask_b32_e64 v5, v16, v18, s[46:47]                   // 000000005114: D1000005 00BA2510
	v_perm_b32 v62, v5, v4, s52                                // 00000000511C: D1ED003E 00D20905
	v_cmp_u_f32_e64 s[46:47], v74, v74                         // 000000005124: D048002E 0002954A
	v_add3_u32 v16, v74, v19, 1                                // 00000000512C: D1FF0010 0206274A
	v_cndmask_b32_e64 v4, v16, v18, s[46:47]                   // 000000005134: D1000004 00BA2510
	v_cmp_u_f32_e64 s[46:47], v75, v75                         // 00000000513C: D048002E 0002974B
	v_add3_u32 v16, v75, v19, 1                                // 000000005144: D1FF0010 0206274B
	v_cndmask_b32_e64 v5, v16, v18, s[46:47]                   // 00000000514C: D1000005 00BA2510
	v_perm_b32 v63, v5, v4, s52                                // 000000005154: D1ED003F 00D20905
	v_cmp_u_f32_e64 s[46:47], v76, v76                         // 00000000515C: D048002E 0002994C
	v_add3_u32 v16, v76, v19, 1                                // 000000005164: D1FF0010 0206274C
	v_cndmask_b32_e64 v4, v16, v18, s[46:47]                   // 00000000516C: D1000004 00BA2510
	v_cmp_u_f32_e64 s[46:47], v77, v77                         // 000000005174: D048002E 00029B4D
	v_add3_u32 v16, v77, v19, 1                                // 00000000517C: D1FF0010 0206274D
	v_cndmask_b32_e64 v5, v16, v18, s[46:47]                   // 000000005184: D1000005 00BA2510
	v_perm_b32 v64, v5, v4, s52                                // 00000000518C: D1ED0040 00D20905
	v_cmp_u_f32_e64 s[46:47], v78, v78                         // 000000005194: D048002E 00029D4E
	v_add3_u32 v16, v78, v19, 1                                // 00000000519C: D1FF0010 0206274E
	v_cndmask_b32_e64 v4, v16, v18, s[46:47]                   // 0000000051A4: D1000004 00BA2510
	v_cmp_u_f32_e64 s[46:47], v79, v79                         // 0000000051AC: D048002E 00029F4F
	v_add3_u32 v16, v79, v19, 1                                // 0000000051B4: D1FF0010 0206274F
	v_cndmask_b32_e64 v5, v16, v18, s[46:47]                   // 0000000051BC: D1000005 00BA2510
	v_perm_b32 v65, v5, v4, s52                                // 0000000051C4: D1ED0041 00D20905
	v_cmp_u_f32_e64 s[46:47], v80, v80                         // 0000000051CC: D048002E 0002A150
	v_add3_u32 v16, v80, v19, 1                                // 0000000051D4: D1FF0010 02062750
	v_cndmask_b32_e64 v4, v16, v18, s[46:47]                   // 0000000051DC: D1000004 00BA2510
	v_cmp_u_f32_e64 s[46:47], v81, v81                         // 0000000051E4: D048002E 0002A351
	v_add3_u32 v16, v81, v19, 1                                // 0000000051EC: D1FF0010 02062751
	v_cndmask_b32_e64 v5, v16, v18, s[46:47]                   // 0000000051F4: D1000005 00BA2510
	v_perm_b32 v66, v5, v4, s52                                // 0000000051FC: D1ED0042 00D20905
	v_cmp_u_f32_e64 s[46:47], v82, v82                         // 000000005204: D048002E 0002A552
	v_add3_u32 v16, v82, v19, 1                                // 00000000520C: D1FF0010 02062752
	v_cndmask_b32_e64 v4, v16, v18, s[46:47]                   // 000000005214: D1000004 00BA2510
	v_cmp_u_f32_e64 s[46:47], v83, v83                         // 00000000521C: D048002E 0002A753
	v_add3_u32 v16, v83, v19, 1                                // 000000005224: D1FF0010 02062753
	v_cndmask_b32_e64 v5, v16, v18, s[46:47]                   // 00000000522C: D1000005 00BA2510
	v_perm_b32 v67, v5, v4, s52                                // 000000005234: D1ED0043 00D20905
	v_cmp_u_f32_e64 s[46:47], v84, v84                         // 00000000523C: D048002E 0002A954
	v_add3_u32 v16, v84, v19, 1                                // 000000005244: D1FF0010 02062754
	v_cndmask_b32_e64 v4, v16, v18, s[46:47]                   // 00000000524C: D1000004 00BA2510
	v_cmp_u_f32_e64 s[46:47], v85, v85                         // 000000005254: D048002E 0002AB55
	v_add3_u32 v16, v85, v19, 1                                // 00000000525C: D1FF0010 02062755
	v_cndmask_b32_e64 v5, v16, v18, s[46:47]                   // 000000005264: D1000005 00BA2510
	v_perm_b32 v68, v5, v4, s52                                // 00000000526C: D1ED0044 00D20905
	v_cmp_u_f32_e64 s[46:47], v86, v86                         // 000000005274: D048002E 0002AD56
	v_add3_u32 v16, v86, v19, 1                                // 00000000527C: D1FF0010 02062756
	v_cndmask_b32_e64 v4, v16, v18, s[46:47]                   // 000000005284: D1000004 00BA2510
	v_cmp_u_f32_e64 s[46:47], v87, v87                         // 00000000528C: D048002E 0002AF57
	v_add3_u32 v16, v87, v19, 1                                // 000000005294: D1FF0010 02062757
	v_cndmask_b32_e64 v5, v16, v18, s[46:47]                   // 00000000529C: D1000005 00BA2510
	v_perm_b32 v69, v5, v4, s52                                // 0000000052A4: D1ED0045 00D20905
	v_cmp_u_f32_e64 s[46:47], v88, v88                         // 0000000052AC: D048002E 0002B158
	v_add3_u32 v16, v88, v19, 1                                // 0000000052B4: D1FF0010 02062758
	v_cndmask_b32_e64 v4, v16, v18, s[46:47]                   // 0000000052BC: D1000004 00BA2510
	v_cmp_u_f32_e64 s[46:47], v89, v89                         // 0000000052C4: D048002E 0002B359
	v_add3_u32 v16, v89, v19, 1                                // 0000000052CC: D1FF0010 02062759
	v_cndmask_b32_e64 v5, v16, v18, s[46:47]                   // 0000000052D4: D1000005 00BA2510
	v_perm_b32 v70, v5, v4, s52                                // 0000000052DC: D1ED0046 00D20905
	v_cmp_u_f32_e64 s[46:47], v90, v90                         // 0000000052E4: D048002E 0002B55A
	v_add3_u32 v16, v90, v19, 1                                // 0000000052EC: D1FF0010 0206275A
	v_cndmask_b32_e64 v4, v16, v18, s[46:47]                   // 0000000052F4: D1000004 00BA2510
	v_cmp_u_f32_e64 s[46:47], v91, v91                         // 0000000052FC: D048002E 0002B75B
	v_add3_u32 v16, v91, v19, 1                                // 000000005304: D1FF0010 0206275B
	v_cndmask_b32_e64 v5, v16, v18, s[46:47]                   // 00000000530C: D1000005 00BA2510
	v_perm_b32 v71, v5, v4, s52                                // 000000005314: D1ED0047 00D20905
	v_cmp_u_f32_e64 s[46:47], v92, v92                         // 00000000531C: D048002E 0002B95C
	v_add3_u32 v16, v92, v19, 1                                // 000000005324: D1FF0010 0206275C
	v_cndmask_b32_e64 v4, v16, v18, s[46:47]                   // 00000000532C: D1000004 00BA2510
	v_cmp_u_f32_e64 s[46:47], v93, v93                         // 000000005334: D048002E 0002BB5D
	v_add3_u32 v16, v93, v19, 1                                // 00000000533C: D1FF0010 0206275D
	v_cndmask_b32_e64 v5, v16, v18, s[46:47]                   // 000000005344: D1000005 00BA2510
	v_perm_b32 v72, v5, v4, s52                                // 00000000534C: D1ED0048 00D20905
	v_cmp_u_f32_e64 s[46:47], v94, v94                         // 000000005354: D048002E 0002BD5E
	v_add3_u32 v16, v94, v19, 1                                // 00000000535C: D1FF0010 0206275E
	v_cndmask_b32_e64 v4, v16, v18, s[46:47]                   // 000000005364: D1000004 00BA2510
	v_cmp_u_f32_e64 s[46:47], v95, v95                         // 00000000536C: D048002E 0002BF5F
	v_add3_u32 v16, v95, v19, 1                                // 000000005374: D1FF0010 0206275F
	v_cndmask_b32_e64 v5, v16, v18, s[46:47]                   // 00000000537C: D1000005 00BA2510
	v_perm_b32 v73, v5, v4, s52                                // 000000005384: D1ED0049 00D20905
	v_cmp_u_f32_e64 s[46:47], v96, v96                         // 00000000538C: D048002E 0002C160
	v_add3_u32 v16, v96, v19, 1                                // 000000005394: D1FF0010 02062760
	v_cndmask_b32_e64 v4, v16, v18, s[46:47]                   // 00000000539C: D1000004 00BA2510
	v_cmp_u_f32_e64 s[46:47], v97, v97                         // 0000000053A4: D048002E 0002C361
	v_add3_u32 v16, v97, v19, 1                                // 0000000053AC: D1FF0010 02062761
	v_cndmask_b32_e64 v5, v16, v18, s[46:47]                   // 0000000053B4: D1000005 00BA2510
	v_perm_b32 v74, v5, v4, s52                                // 0000000053BC: D1ED004A 00D20905
	v_cmp_u_f32_e64 s[46:47], v98, v98                         // 0000000053C4: D048002E 0002C562
	v_add3_u32 v16, v98, v19, 1                                // 0000000053CC: D1FF0010 02062762
	v_cndmask_b32_e64 v4, v16, v18, s[46:47]                   // 0000000053D4: D1000004 00BA2510
	v_cmp_u_f32_e64 s[46:47], v99, v99                         // 0000000053DC: D048002E 0002C763
	v_add3_u32 v16, v99, v19, 1                                // 0000000053E4: D1FF0010 02062763
	v_cndmask_b32_e64 v5, v16, v18, s[46:47]                   // 0000000053EC: D1000005 00BA2510
	v_perm_b32 v75, v5, v4, s52                                // 0000000053F4: D1ED004B 00D20905
	ds_write_b64 v20, v[52:53]                                 // 0000000053FC: D89A0000 00003414
	ds_write_b64 v20, v[54:55] offset:8704                     // 000000005404: D89A2200 00003614
	ds_write_b64 v20, v[56:57] offset:17408                    // 00000000540C: D89A4400 00003814
	ds_write_b64 v20, v[58:59] offset:2176                     // 000000005414: D89A0880 00003A14
	ds_write_b64 v20, v[60:61] offset:10880                    // 00000000541C: D89A2A80 00003C14
	ds_write_b64 v20, v[62:63] offset:19584                    // 000000005424: D89A4C80 00003E14
	ds_write_b64 v20, v[64:65] offset:4352                     // 00000000542C: D89A1100 00004014
	ds_write_b64 v20, v[66:67] offset:13056                    // 000000005434: D89A3300 00004214
	ds_write_b64 v20, v[68:69] offset:21760                    // 00000000543C: D89A5500 00004414
	ds_write_b64 v20, v[70:71] offset:6528                     // 000000005444: D89A1980 00004614
	ds_write_b64 v20, v[72:73] offset:15232                    // 00000000544C: D89A3B80 00004814
	ds_write_b64 v20, v[74:75] offset:23936                    // 000000005454: D89A5D80 00004A14
	v_lshrrev_b32_e32 v4, 5, v0                                // 00000000545C: 20080085
	v_xor_b32_e32 v5, 1, v4                                    // 000000005460: 2A0A0881
	s_mul_i32 s60, s65, 2                                      // 000000005464: 923C8241
	s_cmp_eq_u32 s88, 0                                        // 000000005468: BF068058
	s_cselect_b32 s61, 1, 4                                    // 00000000546C: 853D8481
	s_mul_i32 s60, s61, s60                                    // 000000005470: 923C3C3D
	v_readlane_b32 s82, v3, 0                                  // 000000005474: D2890052 00010103
	s_lshr_b32 s61, s82, 24                                    // 00000000547C: 8F3D9852
	s_and_b32 s82, s82, 0xffffff                               // 000000005480: 8652FF52 00FFFFFF
	s_mul_i32 s82, s82, s71                                    // 000000005488: 92524752
	s_mul_i32 s61, s60, s61                                    // 00000000548C: 923D3D3C
	s_add_u32 s82, s82, s61                                    // 000000005490: 80523D52
	v_mul_lo_u32 v6, v5, s82                                   // 000000005494: D2850006 0000A505
	v_readlane_b32 s82, v3, 1                                  // 00000000549C: D2890052 00010303
	s_lshr_b32 s61, s82, 24                                    // 0000000054A4: 8F3D9852
	s_and_b32 s82, s82, 0xffffff                               // 0000000054A8: 8652FF52 00FFFFFF
	s_mul_i32 s82, s82, s71                                    // 0000000054B0: 92524752
	s_mul_i32 s61, s60, s61                                    // 0000000054B4: 923D3D3C
	s_add_u32 s82, s82, s61                                    // 0000000054B8: 80523D52
	v_mul_lo_u32 v7, v4, s82                                   // 0000000054BC: D2850007 0000A504
	v_add_u32_e32 v40, v6, v7                                  // 0000000054C4: 68500F06
	v_readlane_b32 s82, v3, 2                                  // 0000000054C8: D2890052 00010503
	s_lshr_b32 s61, s82, 24                                    // 0000000054D0: 8F3D9852
	s_and_b32 s82, s82, 0xffffff                               // 0000000054D4: 8652FF52 00FFFFFF
	s_mul_i32 s82, s82, s71                                    // 0000000054DC: 92524752
	s_mul_i32 s61, s60, s61                                    // 0000000054E0: 923D3D3C
	s_add_u32 s82, s82, s61                                    // 0000000054E4: 80523D52
	v_mul_lo_u32 v6, v5, s82                                   // 0000000054E8: D2850006 0000A505
	v_readlane_b32 s82, v3, 3                                  // 0000000054F0: D2890052 00010703
	s_lshr_b32 s61, s82, 24                                    // 0000000054F8: 8F3D9852
	s_and_b32 s82, s82, 0xffffff                               // 0000000054FC: 8652FF52 00FFFFFF
	s_mul_i32 s82, s82, s71                                    // 000000005504: 92524752
	s_mul_i32 s61, s60, s61                                    // 000000005508: 923D3D3C
	s_add_u32 s82, s82, s61                                    // 00000000550C: 80523D52
	v_mul_lo_u32 v7, v4, s82                                   // 000000005510: D2850007 0000A504
	v_add_u32_e32 v41, v6, v7                                  // 000000005518: 68520F06
	v_readlane_b32 s82, v3, 4                                  // 00000000551C: D2890052 00010903
	s_lshr_b32 s61, s82, 24                                    // 000000005524: 8F3D9852
	s_and_b32 s82, s82, 0xffffff                               // 000000005528: 8652FF52 00FFFFFF
	s_mul_i32 s82, s82, s71                                    // 000000005530: 92524752
	s_mul_i32 s61, s60, s61                                    // 000000005534: 923D3D3C
	s_add_u32 s82, s82, s61                                    // 000000005538: 80523D52
	v_mul_lo_u32 v6, v5, s82                                   // 00000000553C: D2850006 0000A505
	v_readlane_b32 s82, v3, 5                                  // 000000005544: D2890052 00010B03
	s_lshr_b32 s61, s82, 24                                    // 00000000554C: 8F3D9852
	s_and_b32 s82, s82, 0xffffff                               // 000000005550: 8652FF52 00FFFFFF
	s_mul_i32 s82, s82, s71                                    // 000000005558: 92524752
	s_mul_i32 s61, s60, s61                                    // 00000000555C: 923D3D3C
	s_add_u32 s82, s82, s61                                    // 000000005560: 80523D52
	v_mul_lo_u32 v7, v4, s82                                   // 000000005564: D2850007 0000A504
	v_add_u32_e32 v42, v6, v7                                  // 00000000556C: 68540F06
	v_readlane_b32 s82, v3, 6                                  // 000000005570: D2890052 00010D03
	s_lshr_b32 s61, s82, 24                                    // 000000005578: 8F3D9852
	s_and_b32 s82, s82, 0xffffff                               // 00000000557C: 8652FF52 00FFFFFF
	s_mul_i32 s82, s82, s71                                    // 000000005584: 92524752
	s_mul_i32 s61, s60, s61                                    // 000000005588: 923D3D3C
	s_add_u32 s82, s82, s61                                    // 00000000558C: 80523D52
	v_mul_lo_u32 v6, v5, s82                                   // 000000005590: D2850006 0000A505
	v_readlane_b32 s82, v3, 7                                  // 000000005598: D2890052 00010F03
	s_lshr_b32 s61, s82, 24                                    // 0000000055A0: 8F3D9852
	s_and_b32 s82, s82, 0xffffff                               // 0000000055A4: 8652FF52 00FFFFFF
	s_mul_i32 s82, s82, s71                                    // 0000000055AC: 92524752
	s_mul_i32 s61, s60, s61                                    // 0000000055B0: 923D3D3C
	s_add_u32 s82, s82, s61                                    // 0000000055B4: 80523D52
	v_mul_lo_u32 v7, v4, s82                                   // 0000000055B8: D2850007 0000A504
	v_add_u32_e32 v43, v6, v7                                  // 0000000055C0: 68560F06
	v_readlane_b32 s82, v3, 8                                  // 0000000055C4: D2890052 00011103
	s_lshr_b32 s61, s82, 24                                    // 0000000055CC: 8F3D9852
	s_and_b32 s82, s82, 0xffffff                               // 0000000055D0: 8652FF52 00FFFFFF
	s_mul_i32 s82, s82, s71                                    // 0000000055D8: 92524752
	s_mul_i32 s61, s60, s61                                    // 0000000055DC: 923D3D3C
	s_add_u32 s82, s82, s61                                    // 0000000055E0: 80523D52
	v_mul_lo_u32 v6, v5, s82                                   // 0000000055E4: D2850006 0000A505
	v_readlane_b32 s82, v3, 9                                  // 0000000055EC: D2890052 00011303
	s_lshr_b32 s61, s82, 24                                    // 0000000055F4: 8F3D9852
	s_and_b32 s82, s82, 0xffffff                               // 0000000055F8: 8652FF52 00FFFFFF
	s_mul_i32 s82, s82, s71                                    // 000000005600: 92524752
	s_mul_i32 s61, s60, s61                                    // 000000005604: 923D3D3C
	s_add_u32 s82, s82, s61                                    // 000000005608: 80523D52
	v_mul_lo_u32 v7, v4, s82                                   // 00000000560C: D2850007 0000A504
	v_add_u32_e32 v44, v6, v7                                  // 000000005614: 68580F06
	v_readlane_b32 s82, v3, 10                                 // 000000005618: D2890052 00011503
	s_lshr_b32 s61, s82, 24                                    // 000000005620: 8F3D9852
	s_and_b32 s82, s82, 0xffffff                               // 000000005624: 8652FF52 00FFFFFF
	s_mul_i32 s82, s82, s71                                    // 00000000562C: 92524752
	s_mul_i32 s61, s60, s61                                    // 000000005630: 923D3D3C
	s_add_u32 s82, s82, s61                                    // 000000005634: 80523D52
	v_mul_lo_u32 v6, v5, s82                                   // 000000005638: D2850006 0000A505
	v_readlane_b32 s82, v3, 11                                 // 000000005640: D2890052 00011703
	s_lshr_b32 s61, s82, 24                                    // 000000005648: 8F3D9852
	s_and_b32 s82, s82, 0xffffff                               // 00000000564C: 8652FF52 00FFFFFF
	s_mul_i32 s82, s82, s71                                    // 000000005654: 92524752
	s_mul_i32 s61, s60, s61                                    // 000000005658: 923D3D3C
	s_add_u32 s82, s82, s61                                    // 00000000565C: 80523D52
	v_mul_lo_u32 v7, v4, s82                                   // 000000005660: D2850007 0000A504
	v_add_u32_e32 v45, v6, v7                                  // 000000005668: 685A0F06
	v_and_b32_e32 v4, 31, v0                                   // 00000000566C: 2608009F
	v_lshrrev_b32_e32 v4, 1, v4                                // 000000005670: 20080881
	s_cmp_eq_u32 s88, 0                                        // 000000005674: BF068058
	s_cselect_b32 s61, 2, 4                                    // 000000005678: 853D8482
	v_mul_lo_u32 v4, v4, s61                                   // 00000000567C: D2850004 00007B04
	v_and_b32_e64 v5, v0, 1                                    // 000000005684: D1130005 00010300
	v_add_u32_e32 v4, v4, v5                                   // 00000000568C: 68080B04
	v_lshlrev_b32_e32 v4, 2, v4                                // 000000005690: 24080882
	v_add_u32_e32 v40, v40, v4                                 // 000000005694: 68500928
	v_add_u32_e32 v41, v41, v4                                 // 000000005698: 68520929
	v_add_u32_e32 v42, v42, v4                                 // 00000000569C: 6854092A
	v_add_u32_e32 v43, v43, v4                                 // 0000000056A0: 6856092B
	v_add_u32_e32 v44, v44, v4                                 // 0000000056A4: 6858092C
	v_add_u32_e32 v45, v45, v4                                 // 0000000056A8: 685A092D
	s_waitcnt lgkmcnt(0)                                       // 0000000056AC: BF8CC07F
	s_barrier                                                  // 0000000056B0: BF8A0000
	ds_read_b32 v52, v21                                       // 0000000056B4: D86C0000 34000015
	ds_read_b32 v53, v21 offset:64                             // 0000000056BC: D86C0040 35000015
	ds_read_b32 v54, v21 offset:2176                           // 0000000056C4: D86C0880 36000015
	ds_read_b32 v55, v21 offset:2240                           // 0000000056CC: D86C08C0 37000015
	ds_read_b32 v56, v21 offset:4352                           // 0000000056D4: D86C1100 38000015
	ds_read_b32 v57, v21 offset:4416                           // 0000000056DC: D86C1140 39000015
	ds_read_b32 v58, v21 offset:6528                           // 0000000056E4: D86C1980 3A000015
	ds_read_b32 v59, v21 offset:6592                           // 0000000056EC: D86C19C0 3B000015
	ds_read_b32 v60, v21 offset:8704                           // 0000000056F4: D86C2200 3C000015
	ds_read_b32 v61, v21 offset:8768                           // 0000000056FC: D86C2240 3D000015
	ds_read_b32 v62, v21 offset:10880                          // 000000005704: D86C2A80 3E000015
	ds_read_b32 v63, v21 offset:10944                          // 00000000570C: D86C2AC0 3F000015
	ds_read_b32 v64, v21 offset:13056                          // 000000005714: D86C3300 40000015
	ds_read_b32 v65, v21 offset:13120                          // 00000000571C: D86C3340 41000015
	ds_read_b32 v66, v21 offset:15232                          // 000000005724: D86C3B80 42000015
	ds_read_b32 v67, v21 offset:15296                          // 00000000572C: D86C3BC0 43000015
	ds_read_b32 v68, v21 offset:17408                          // 000000005734: D86C4400 44000015
	ds_read_b32 v69, v21 offset:17472                          // 00000000573C: D86C4440 45000015
	ds_read_b32 v70, v21 offset:19584                          // 000000005744: D86C4C80 46000015
	ds_read_b32 v71, v21 offset:19648                          // 00000000574C: D86C4CC0 47000015
	ds_read_b32 v72, v21 offset:21760                          // 000000005754: D86C5500 48000015
	ds_read_b32 v73, v21 offset:21824                          // 00000000575C: D86C5540 49000015
	ds_read_b32 v74, v21 offset:23936                          // 000000005764: D86C5D80 4A000015
	ds_read_b32 v75, v21 offset:24000                          // 00000000576C: D86C5DC0 4B000015
	s_waitcnt lgkmcnt(0)                                       // 000000005774: BF8CC07F
	s_mov_b32 s36, -1                                          // 000000005778: BEA400C1
	s_mov_b32 s37, -1                                          // 00000000577C: BEA500C1
	v_mov_b32_e32 v7, 0                                        // 000000005780: 7E0E0280
	s_or_b32 s9, s9, 0x40000                                   // 000000005784: 8709FF09 00040000
	s_mov_b64 exec, s[36:37]                                   // 00000000578C: BEFE0124
	v_mov_b32_e32 v6, v40                                      // 000000005790: 7E0C0328
	s_mov_b64 s[60:61], 0                                      // 000000005794: BEBC0180
	v_readlane_b32 s82, v3, 0                                  // 000000005798: D2890052 00010103
	s_and_b32 s82, s82, 0xffffff                               // 0000000057A0: 8652FF52 00FFFFFF
	s_cmp_lt_u32 s82, s66                                      // 0000000057A8: BF0A4252
	s_cselect_b32 s20, s36, s60                                // 0000000057AC: 85143C24
	v_readlane_b32 s82, v3, 1                                  // 0000000057B0: D2890052 00010303
	s_and_b32 s82, s82, 0xffffff                               // 0000000057B8: 8652FF52 00FFFFFF
	s_cmp_lt_u32 s82, s66                                      // 0000000057C0: BF0A4252
	s_cselect_b32 s21, s36, s60                                // 0000000057C4: 85153C24
	s_mov_b64 exec, s[20:21]                                   // 0000000057C8: BEFE0114
	buffer_store_dword v52, v6, s[8:11], 0 offen               // 0000000057CC: E0701000 80023406
	buffer_store_dword v54, v6, s[8:11], 0 offen offset:128    // 0000000057D4: E0701080 80023606
	buffer_store_dword v56, v6, s[8:11], 0 offen offset:256    // 0000000057DC: E0701100 80023806
	buffer_store_dword v58, v6, s[8:11], 0 offen offset:384    // 0000000057E4: E0701180 80023A06
	s_mov_b64 exec, s[36:37]                                   // 0000000057EC: BEFE0124
	v_mov_b32_e32 v6, v41                                      // 0000000057F0: 7E0C0329
	s_mov_b64 s[60:61], 0                                      // 0000000057F4: BEBC0180
	v_readlane_b32 s82, v3, 2                                  // 0000000057F8: D2890052 00010503
	s_and_b32 s82, s82, 0xffffff                               // 000000005800: 8652FF52 00FFFFFF
	s_cmp_lt_u32 s82, s66                                      // 000000005808: BF0A4252
	s_cselect_b32 s20, s36, s60                                // 00000000580C: 85143C24
	v_readlane_b32 s82, v3, 3                                  // 000000005810: D2890052 00010703
	s_and_b32 s82, s82, 0xffffff                               // 000000005818: 8652FF52 00FFFFFF
	s_cmp_lt_u32 s82, s66                                      // 000000005820: BF0A4252
	s_cselect_b32 s21, s36, s60                                // 000000005824: 85153C24
	s_mov_b64 exec, s[20:21]                                   // 000000005828: BEFE0114
	buffer_store_dword v53, v6, s[8:11], 0 offen               // 00000000582C: E0701000 80023506
	buffer_store_dword v55, v6, s[8:11], 0 offen offset:128    // 000000005834: E0701080 80023706
	buffer_store_dword v57, v6, s[8:11], 0 offen offset:256    // 00000000583C: E0701100 80023906
	buffer_store_dword v59, v6, s[8:11], 0 offen offset:384    // 000000005844: E0701180 80023B06
	s_mov_b64 exec, s[36:37]                                   // 00000000584C: BEFE0124
	v_mov_b32_e32 v6, v42                                      // 000000005850: 7E0C032A
	s_mov_b64 s[60:61], 0                                      // 000000005854: BEBC0180
	v_readlane_b32 s82, v3, 4                                  // 000000005858: D2890052 00010903
	s_and_b32 s82, s82, 0xffffff                               // 000000005860: 8652FF52 00FFFFFF
	s_cmp_lt_u32 s82, s66                                      // 000000005868: BF0A4252
	s_cselect_b32 s20, s36, s60                                // 00000000586C: 85143C24
	v_readlane_b32 s82, v3, 5                                  // 000000005870: D2890052 00010B03
	s_and_b32 s82, s82, 0xffffff                               // 000000005878: 8652FF52 00FFFFFF
	s_cmp_lt_u32 s82, s66                                      // 000000005880: BF0A4252
	s_cselect_b32 s21, s36, s60                                // 000000005884: 85153C24
	s_mov_b64 exec, s[20:21]                                   // 000000005888: BEFE0114
	buffer_store_dword v60, v6, s[8:11], 0 offen               // 00000000588C: E0701000 80023C06
	buffer_store_dword v62, v6, s[8:11], 0 offen offset:128    // 000000005894: E0701080 80023E06
	buffer_store_dword v64, v6, s[8:11], 0 offen offset:256    // 00000000589C: E0701100 80024006
	buffer_store_dword v66, v6, s[8:11], 0 offen offset:384    // 0000000058A4: E0701180 80024206
	s_mov_b64 exec, s[36:37]                                   // 0000000058AC: BEFE0124
	v_mov_b32_e32 v6, v43                                      // 0000000058B0: 7E0C032B
	s_mov_b64 s[60:61], 0                                      // 0000000058B4: BEBC0180
	v_readlane_b32 s82, v3, 6                                  // 0000000058B8: D2890052 00010D03
	s_and_b32 s82, s82, 0xffffff                               // 0000000058C0: 8652FF52 00FFFFFF
	s_cmp_lt_u32 s82, s66                                      // 0000000058C8: BF0A4252
	s_cselect_b32 s20, s36, s60                                // 0000000058CC: 85143C24
	v_readlane_b32 s82, v3, 7                                  // 0000000058D0: D2890052 00010F03
	s_and_b32 s82, s82, 0xffffff                               // 0000000058D8: 8652FF52 00FFFFFF
	s_cmp_lt_u32 s82, s66                                      // 0000000058E0: BF0A4252
	s_cselect_b32 s21, s36, s60                                // 0000000058E4: 85153C24
	s_mov_b64 exec, s[20:21]                                   // 0000000058E8: BEFE0114
	buffer_store_dword v61, v6, s[8:11], 0 offen               // 0000000058EC: E0701000 80023D06
	buffer_store_dword v63, v6, s[8:11], 0 offen offset:128    // 0000000058F4: E0701080 80023F06
	buffer_store_dword v65, v6, s[8:11], 0 offen offset:256    // 0000000058FC: E0701100 80024106
	buffer_store_dword v67, v6, s[8:11], 0 offen offset:384    // 000000005904: E0701180 80024306
	s_mov_b64 exec, s[36:37]                                   // 00000000590C: BEFE0124
	v_mov_b32_e32 v6, v44                                      // 000000005910: 7E0C032C
	s_mov_b64 s[60:61], 0                                      // 000000005914: BEBC0180
	v_readlane_b32 s82, v3, 8                                  // 000000005918: D2890052 00011103
	s_and_b32 s82, s82, 0xffffff                               // 000000005920: 8652FF52 00FFFFFF
	s_cmp_lt_u32 s82, s66                                      // 000000005928: BF0A4252
	s_cselect_b32 s20, s36, s60                                // 00000000592C: 85143C24
	v_readlane_b32 s82, v3, 9                                  // 000000005930: D2890052 00011303
	s_and_b32 s82, s82, 0xffffff                               // 000000005938: 8652FF52 00FFFFFF
	s_cmp_lt_u32 s82, s66                                      // 000000005940: BF0A4252
	s_cselect_b32 s21, s36, s60                                // 000000005944: 85153C24
	s_mov_b64 exec, s[20:21]                                   // 000000005948: BEFE0114
	buffer_store_dword v68, v6, s[8:11], 0 offen               // 00000000594C: E0701000 80024406
	buffer_store_dword v70, v6, s[8:11], 0 offen offset:128    // 000000005954: E0701080 80024606
	buffer_store_dword v72, v6, s[8:11], 0 offen offset:256    // 00000000595C: E0701100 80024806
	buffer_store_dword v74, v6, s[8:11], 0 offen offset:384    // 000000005964: E0701180 80024A06
	s_mov_b64 exec, s[36:37]                                   // 00000000596C: BEFE0124
	v_mov_b32_e32 v6, v45                                      // 000000005970: 7E0C032D
	s_mov_b64 s[60:61], 0                                      // 000000005974: BEBC0180
	v_readlane_b32 s82, v3, 10                                 // 000000005978: D2890052 00011503
	s_and_b32 s82, s82, 0xffffff                               // 000000005980: 8652FF52 00FFFFFF
	s_cmp_lt_u32 s82, s66                                      // 000000005988: BF0A4252
	s_cselect_b32 s20, s36, s60                                // 00000000598C: 85143C24
	v_readlane_b32 s82, v3, 11                                 // 000000005990: D2890052 00011703
	s_and_b32 s82, s82, 0xffffff                               // 000000005998: 8652FF52 00FFFFFF
	s_cmp_lt_u32 s82, s66                                      // 0000000059A0: BF0A4252
	s_cselect_b32 s21, s36, s60                                // 0000000059A4: 85153C24
	s_mov_b64 exec, s[20:21]                                   // 0000000059A8: BEFE0114
	buffer_store_dword v69, v6, s[8:11], 0 offen               // 0000000059AC: E0701000 80024506
	buffer_store_dword v71, v6, s[8:11], 0 offen offset:128    // 0000000059B4: E0701080 80024706
	buffer_store_dword v73, v6, s[8:11], 0 offen offset:256    // 0000000059BC: E0701100 80024906
	buffer_store_dword v75, v6, s[8:11], 0 offen offset:384    // 0000000059C4: E0701180 80024B06
	s_mov_b64 exec, s[36:37]                                   // 0000000059CC: BEFE0124
	s_branch label_1DA9                                        // 0000000059D0: BF8211B1

00000000000059d4 <label_0BF5>:
	ds_write_b64 v20, v[52:53]                                 // 0000000059D4: D89A0000 00003414
	ds_write_b64 v20, v[56:57] offset:8704                     // 0000000059DC: D89A2200 00003814
	ds_write_b64 v20, v[60:61] offset:17408                    // 0000000059E4: D89A4400 00003C14
	ds_write_b64 v20, v[64:65] offset:2176                     // 0000000059EC: D89A0880 00004014
	ds_write_b64 v20, v[68:69] offset:10880                    // 0000000059F4: D89A2A80 00004414
	ds_write_b64 v20, v[72:73] offset:19584                    // 0000000059FC: D89A4C80 00004814
	ds_write_b64 v20, v[76:77] offset:4352                     // 000000005A04: D89A1100 00004C14
	ds_write_b64 v20, v[80:81] offset:13056                    // 000000005A0C: D89A3300 00005014
	ds_write_b64 v20, v[84:85] offset:21760                    // 000000005A14: D89A5500 00005414
	ds_write_b64 v20, v[88:89] offset:6528                     // 000000005A1C: D89A1980 00005814
	ds_write_b64 v20, v[92:93] offset:15232                    // 000000005A24: D89A3B80 00005C14
	ds_write_b64 v20, v[96:97] offset:23936                    // 000000005A2C: D89A5D80 00006014
	v_lshrrev_b32_e32 v4, 5, v0                                // 000000005A34: 20080085
	v_xor_b32_e32 v5, 1, v4                                    // 000000005A38: 2A0A0881
	s_mul_i32 s60, s65, 2                                      // 000000005A3C: 923C8241
	s_cmp_eq_u32 s88, 0                                        // 000000005A40: BF068058
	s_cselect_b32 s61, 1, 4                                    // 000000005A44: 853D8481
	s_mul_i32 s60, s61, s60                                    // 000000005A48: 923C3C3D
	v_readlane_b32 s82, v3, 0                                  // 000000005A4C: D2890052 00010103
	s_lshr_b32 s61, s82, 24                                    // 000000005A54: 8F3D9852
	s_and_b32 s82, s82, 0xffffff                               // 000000005A58: 8652FF52 00FFFFFF
	s_mul_i32 s82, s82, s71                                    // 000000005A60: 92524752
	s_mul_i32 s61, s60, s61                                    // 000000005A64: 923D3D3C
	s_add_u32 s82, s82, s61                                    // 000000005A68: 80523D52
	v_mul_lo_u32 v6, v5, s82                                   // 000000005A6C: D2850006 0000A505
	v_readlane_b32 s82, v3, 1                                  // 000000005A74: D2890052 00010303
	s_lshr_b32 s61, s82, 24                                    // 000000005A7C: 8F3D9852
	s_and_b32 s82, s82, 0xffffff                               // 000000005A80: 8652FF52 00FFFFFF
	s_mul_i32 s82, s82, s71                                    // 000000005A88: 92524752
	s_mul_i32 s61, s60, s61                                    // 000000005A8C: 923D3D3C
	s_add_u32 s82, s82, s61                                    // 000000005A90: 80523D52
	v_mul_lo_u32 v7, v4, s82                                   // 000000005A94: D2850007 0000A504
	v_add_u32_e32 v40, v6, v7                                  // 000000005A9C: 68500F06
	v_readlane_b32 s82, v3, 2                                  // 000000005AA0: D2890052 00010503
	s_lshr_b32 s61, s82, 24                                    // 000000005AA8: 8F3D9852
	s_and_b32 s82, s82, 0xffffff                               // 000000005AAC: 8652FF52 00FFFFFF
	s_mul_i32 s82, s82, s71                                    // 000000005AB4: 92524752
	s_mul_i32 s61, s60, s61                                    // 000000005AB8: 923D3D3C
	s_add_u32 s82, s82, s61                                    // 000000005ABC: 80523D52
	v_mul_lo_u32 v6, v5, s82                                   // 000000005AC0: D2850006 0000A505
	v_readlane_b32 s82, v3, 3                                  // 000000005AC8: D2890052 00010703
	s_lshr_b32 s61, s82, 24                                    // 000000005AD0: 8F3D9852
	s_and_b32 s82, s82, 0xffffff                               // 000000005AD4: 8652FF52 00FFFFFF
	s_mul_i32 s82, s82, s71                                    // 000000005ADC: 92524752
	s_mul_i32 s61, s60, s61                                    // 000000005AE0: 923D3D3C
	s_add_u32 s82, s82, s61                                    // 000000005AE4: 80523D52
	v_mul_lo_u32 v7, v4, s82                                   // 000000005AE8: D2850007 0000A504
	v_add_u32_e32 v41, v6, v7                                  // 000000005AF0: 68520F06
	v_readlane_b32 s82, v3, 4                                  // 000000005AF4: D2890052 00010903
	s_lshr_b32 s61, s82, 24                                    // 000000005AFC: 8F3D9852
	s_and_b32 s82, s82, 0xffffff                               // 000000005B00: 8652FF52 00FFFFFF
	s_mul_i32 s82, s82, s71                                    // 000000005B08: 92524752
	s_mul_i32 s61, s60, s61                                    // 000000005B0C: 923D3D3C
	s_add_u32 s82, s82, s61                                    // 000000005B10: 80523D52
	v_mul_lo_u32 v6, v5, s82                                   // 000000005B14: D2850006 0000A505
	v_readlane_b32 s82, v3, 5                                  // 000000005B1C: D2890052 00010B03
	s_lshr_b32 s61, s82, 24                                    // 000000005B24: 8F3D9852
	s_and_b32 s82, s82, 0xffffff                               // 000000005B28: 8652FF52 00FFFFFF
	s_mul_i32 s82, s82, s71                                    // 000000005B30: 92524752
	s_mul_i32 s61, s60, s61                                    // 000000005B34: 923D3D3C
	s_add_u32 s82, s82, s61                                    // 000000005B38: 80523D52
	v_mul_lo_u32 v7, v4, s82                                   // 000000005B3C: D2850007 0000A504
	v_add_u32_e32 v42, v6, v7                                  // 000000005B44: 68540F06
	v_readlane_b32 s82, v3, 6                                  // 000000005B48: D2890052 00010D03
	s_lshr_b32 s61, s82, 24                                    // 000000005B50: 8F3D9852
	s_and_b32 s82, s82, 0xffffff                               // 000000005B54: 8652FF52 00FFFFFF
	s_mul_i32 s82, s82, s71                                    // 000000005B5C: 92524752
	s_mul_i32 s61, s60, s61                                    // 000000005B60: 923D3D3C
	s_add_u32 s82, s82, s61                                    // 000000005B64: 80523D52
	v_mul_lo_u32 v6, v5, s82                                   // 000000005B68: D2850006 0000A505
	v_readlane_b32 s82, v3, 7                                  // 000000005B70: D2890052 00010F03
	s_lshr_b32 s61, s82, 24                                    // 000000005B78: 8F3D9852
	s_and_b32 s82, s82, 0xffffff                               // 000000005B7C: 8652FF52 00FFFFFF
	s_mul_i32 s82, s82, s71                                    // 000000005B84: 92524752
	s_mul_i32 s61, s60, s61                                    // 000000005B88: 923D3D3C
	s_add_u32 s82, s82, s61                                    // 000000005B8C: 80523D52
	v_mul_lo_u32 v7, v4, s82                                   // 000000005B90: D2850007 0000A504
	v_add_u32_e32 v43, v6, v7                                  // 000000005B98: 68560F06
	v_readlane_b32 s82, v3, 8                                  // 000000005B9C: D2890052 00011103
	s_lshr_b32 s61, s82, 24                                    // 000000005BA4: 8F3D9852
	s_and_b32 s82, s82, 0xffffff                               // 000000005BA8: 8652FF52 00FFFFFF
	s_mul_i32 s82, s82, s71                                    // 000000005BB0: 92524752
	s_mul_i32 s61, s60, s61                                    // 000000005BB4: 923D3D3C
	s_add_u32 s82, s82, s61                                    // 000000005BB8: 80523D52
	v_mul_lo_u32 v6, v5, s82                                   // 000000005BBC: D2850006 0000A505
	v_readlane_b32 s82, v3, 9                                  // 000000005BC4: D2890052 00011303
	s_lshr_b32 s61, s82, 24                                    // 000000005BCC: 8F3D9852
	s_and_b32 s82, s82, 0xffffff                               // 000000005BD0: 8652FF52 00FFFFFF
	s_mul_i32 s82, s82, s71                                    // 000000005BD8: 92524752
	s_mul_i32 s61, s60, s61                                    // 000000005BDC: 923D3D3C
	s_add_u32 s82, s82, s61                                    // 000000005BE0: 80523D52
	v_mul_lo_u32 v7, v4, s82                                   // 000000005BE4: D2850007 0000A504
	v_add_u32_e32 v44, v6, v7                                  // 000000005BEC: 68580F06
	v_readlane_b32 s82, v3, 10                                 // 000000005BF0: D2890052 00011503
	s_lshr_b32 s61, s82, 24                                    // 000000005BF8: 8F3D9852
	s_and_b32 s82, s82, 0xffffff                               // 000000005BFC: 8652FF52 00FFFFFF
	s_mul_i32 s82, s82, s71                                    // 000000005C04: 92524752
	s_mul_i32 s61, s60, s61                                    // 000000005C08: 923D3D3C
	s_add_u32 s82, s82, s61                                    // 000000005C0C: 80523D52
	v_mul_lo_u32 v6, v5, s82                                   // 000000005C10: D2850006 0000A505
	v_readlane_b32 s82, v3, 11                                 // 000000005C18: D2890052 00011703
	s_lshr_b32 s61, s82, 24                                    // 000000005C20: 8F3D9852
	s_and_b32 s82, s82, 0xffffff                               // 000000005C24: 8652FF52 00FFFFFF
	s_mul_i32 s82, s82, s71                                    // 000000005C2C: 92524752
	s_mul_i32 s61, s60, s61                                    // 000000005C30: 923D3D3C
	s_add_u32 s82, s82, s61                                    // 000000005C34: 80523D52
	v_mul_lo_u32 v7, v4, s82                                   // 000000005C38: D2850007 0000A504
	v_add_u32_e32 v45, v6, v7                                  // 000000005C40: 685A0F06
	v_and_b32_e32 v4, 31, v0                                   // 000000005C44: 2608009F
	v_lshrrev_b32_e32 v4, 1, v4                                // 000000005C48: 20080881
	s_cmp_eq_u32 s88, 0                                        // 000000005C4C: BF068058
	s_cselect_b32 s61, 2, 4                                    // 000000005C50: 853D8482
	v_mul_lo_u32 v4, v4, s61                                   // 000000005C54: D2850004 00007B04
	v_and_b32_e64 v5, v0, 1                                    // 000000005C5C: D1130005 00010300
	v_add_u32_e32 v4, v4, v5                                   // 000000005C64: 68080B04
	v_lshlrev_b32_e32 v4, 2, v4                                // 000000005C68: 24080882
	v_add_u32_e32 v40, v40, v4                                 // 000000005C6C: 68500928
	v_add_u32_e32 v41, v41, v4                                 // 000000005C70: 68520929
	v_add_u32_e32 v42, v42, v4                                 // 000000005C74: 6854092A
	v_add_u32_e32 v43, v43, v4                                 // 000000005C78: 6856092B
	v_add_u32_e32 v44, v44, v4                                 // 000000005C7C: 6858092C
	v_add_u32_e32 v45, v45, v4                                 // 000000005C80: 685A092D
	s_waitcnt lgkmcnt(0)                                       // 000000005C84: BF8CC07F
	s_barrier                                                  // 000000005C88: BF8A0000
	ds_read_b32 v52, v21                                       // 000000005C8C: D86C0000 34000015
	ds_read_b32 v53, v21 offset:64                             // 000000005C94: D86C0040 35000015
	ds_read_b32 v56, v21 offset:2176                           // 000000005C9C: D86C0880 38000015
	ds_read_b32 v57, v21 offset:2240                           // 000000005CA4: D86C08C0 39000015
	ds_read_b32 v60, v21 offset:4352                           // 000000005CAC: D86C1100 3C000015
	ds_read_b32 v61, v21 offset:4416                           // 000000005CB4: D86C1140 3D000015
	ds_read_b32 v64, v21 offset:6528                           // 000000005CBC: D86C1980 40000015
	ds_read_b32 v65, v21 offset:6592                           // 000000005CC4: D86C19C0 41000015
	ds_read_b32 v68, v21 offset:8704                           // 000000005CCC: D86C2200 44000015
	ds_read_b32 v69, v21 offset:8768                           // 000000005CD4: D86C2240 45000015
	ds_read_b32 v72, v21 offset:10880                          // 000000005CDC: D86C2A80 48000015
	ds_read_b32 v73, v21 offset:10944                          // 000000005CE4: D86C2AC0 49000015
	ds_read_b32 v76, v21 offset:13056                          // 000000005CEC: D86C3300 4C000015
	ds_read_b32 v77, v21 offset:13120                          // 000000005CF4: D86C3340 4D000015
	ds_read_b32 v80, v21 offset:15232                          // 000000005CFC: D86C3B80 50000015
	ds_read_b32 v81, v21 offset:15296                          // 000000005D04: D86C3BC0 51000015
	ds_read_b32 v84, v21 offset:17408                          // 000000005D0C: D86C4400 54000015
	ds_read_b32 v85, v21 offset:17472                          // 000000005D14: D86C4440 55000015
	ds_read_b32 v88, v21 offset:19584                          // 000000005D1C: D86C4C80 58000015
	ds_read_b32 v89, v21 offset:19648                          // 000000005D24: D86C4CC0 59000015
	ds_read_b32 v92, v21 offset:21760                          // 000000005D2C: D86C5500 5C000015
	ds_read_b32 v93, v21 offset:21824                          // 000000005D34: D86C5540 5D000015
	ds_read_b32 v96, v21 offset:23936                          // 000000005D3C: D86C5D80 60000015
	ds_read_b32 v97, v21 offset:24000                          // 000000005D44: D86C5DC0 61000015
	s_waitcnt lgkmcnt(0)                                       // 000000005D4C: BF8CC07F
	s_mov_b32 s36, -1                                          // 000000005D50: BEA400C1
	s_mov_b32 s37, -1                                          // 000000005D54: BEA500C1
	v_mov_b32_e32 v7, 0                                        // 000000005D58: 7E0E0280
	s_mov_b64 exec, s[36:37]                                   // 000000005D5C: BEFE0124
	v_mov_b32_e32 v6, v40                                      // 000000005D60: 7E0C0328
	s_mov_b64 s[60:61], 0                                      // 000000005D64: BEBC0180
	v_readlane_b32 s82, v3, 0                                  // 000000005D68: D2890052 00010103
	s_and_b32 s82, s82, 0xffffff                               // 000000005D70: 8652FF52 00FFFFFF
	s_cmp_lt_u32 s82, s66                                      // 000000005D78: BF0A4252
	s_cselect_b32 s20, s36, s60                                // 000000005D7C: 85143C24
	v_readlane_b32 s82, v3, 1                                  // 000000005D80: D2890052 00010303
	s_and_b32 s82, s82, 0xffffff                               // 000000005D88: 8652FF52 00FFFFFF
	s_cmp_lt_u32 s82, s66                                      // 000000005D90: BF0A4252
	s_cselect_b32 s21, s36, s60                                // 000000005D94: 85153C24
	s_mov_b64 exec, s[20:21]                                   // 000000005D98: BEFE0114
	global_atomic_add_f32 v6, v52, s[8:9]                      // 000000005D9C: DD348000 00083406
	global_atomic_add_f32 v6, v56, s[8:9] offset:256           // 000000005DA4: DD348100 00083806
	global_atomic_add_f32 v6, v60, s[8:9] offset:512           // 000000005DAC: DD348200 00083C06
	global_atomic_add_f32 v6, v64, s[8:9] offset:768           // 000000005DB4: DD348300 00084006
	s_mov_b64 exec, s[36:37]                                   // 000000005DBC: BEFE0124
	v_mov_b32_e32 v6, v41                                      // 000000005DC0: 7E0C0329
	s_mov_b64 s[60:61], 0                                      // 000000005DC4: BEBC0180
	v_readlane_b32 s82, v3, 2                                  // 000000005DC8: D2890052 00010503
	s_and_b32 s82, s82, 0xffffff                               // 000000005DD0: 8652FF52 00FFFFFF
	s_cmp_lt_u32 s82, s66                                      // 000000005DD8: BF0A4252
	s_cselect_b32 s20, s36, s60                                // 000000005DDC: 85143C24
	v_readlane_b32 s82, v3, 3                                  // 000000005DE0: D2890052 00010703
	s_and_b32 s82, s82, 0xffffff                               // 000000005DE8: 8652FF52 00FFFFFF
	s_cmp_lt_u32 s82, s66                                      // 000000005DF0: BF0A4252
	s_cselect_b32 s21, s36, s60                                // 000000005DF4: 85153C24
	s_mov_b64 exec, s[20:21]                                   // 000000005DF8: BEFE0114
	global_atomic_add_f32 v6, v53, s[8:9]                      // 000000005DFC: DD348000 00083506
	global_atomic_add_f32 v6, v57, s[8:9] offset:256           // 000000005E04: DD348100 00083906
	global_atomic_add_f32 v6, v61, s[8:9] offset:512           // 000000005E0C: DD348200 00083D06
	global_atomic_add_f32 v6, v65, s[8:9] offset:768           // 000000005E14: DD348300 00084106
	s_mov_b64 exec, s[36:37]                                   // 000000005E1C: BEFE0124
	v_mov_b32_e32 v6, v42                                      // 000000005E20: 7E0C032A
	s_mov_b64 s[60:61], 0                                      // 000000005E24: BEBC0180
	v_readlane_b32 s82, v3, 4                                  // 000000005E28: D2890052 00010903
	s_and_b32 s82, s82, 0xffffff                               // 000000005E30: 8652FF52 00FFFFFF
	s_cmp_lt_u32 s82, s66                                      // 000000005E38: BF0A4252
	s_cselect_b32 s20, s36, s60                                // 000000005E3C: 85143C24
	v_readlane_b32 s82, v3, 5                                  // 000000005E40: D2890052 00010B03
	s_and_b32 s82, s82, 0xffffff                               // 000000005E48: 8652FF52 00FFFFFF
	s_cmp_lt_u32 s82, s66                                      // 000000005E50: BF0A4252
	s_cselect_b32 s21, s36, s60                                // 000000005E54: 85153C24
	s_mov_b64 exec, s[20:21]                                   // 000000005E58: BEFE0114
	global_atomic_add_f32 v6, v68, s[8:9]                      // 000000005E5C: DD348000 00084406
	global_atomic_add_f32 v6, v72, s[8:9] offset:256           // 000000005E64: DD348100 00084806
	global_atomic_add_f32 v6, v76, s[8:9] offset:512           // 000000005E6C: DD348200 00084C06
	global_atomic_add_f32 v6, v80, s[8:9] offset:768           // 000000005E74: DD348300 00085006
	s_mov_b64 exec, s[36:37]                                   // 000000005E7C: BEFE0124
	v_mov_b32_e32 v6, v43                                      // 000000005E80: 7E0C032B
	s_mov_b64 s[60:61], 0                                      // 000000005E84: BEBC0180
	v_readlane_b32 s82, v3, 6                                  // 000000005E88: D2890052 00010D03
	s_and_b32 s82, s82, 0xffffff                               // 000000005E90: 8652FF52 00FFFFFF
	s_cmp_lt_u32 s82, s66                                      // 000000005E98: BF0A4252
	s_cselect_b32 s20, s36, s60                                // 000000005E9C: 85143C24
	v_readlane_b32 s82, v3, 7                                  // 000000005EA0: D2890052 00010F03
	s_and_b32 s82, s82, 0xffffff                               // 000000005EA8: 8652FF52 00FFFFFF
	s_cmp_lt_u32 s82, s66                                      // 000000005EB0: BF0A4252
	s_cselect_b32 s21, s36, s60                                // 000000005EB4: 85153C24
	s_mov_b64 exec, s[20:21]                                   // 000000005EB8: BEFE0114
	global_atomic_add_f32 v6, v69, s[8:9]                      // 000000005EBC: DD348000 00084506
	global_atomic_add_f32 v6, v73, s[8:9] offset:256           // 000000005EC4: DD348100 00084906
	global_atomic_add_f32 v6, v77, s[8:9] offset:512           // 000000005ECC: DD348200 00084D06
	global_atomic_add_f32 v6, v81, s[8:9] offset:768           // 000000005ED4: DD348300 00085106
	s_mov_b64 exec, s[36:37]                                   // 000000005EDC: BEFE0124
	v_mov_b32_e32 v6, v44                                      // 000000005EE0: 7E0C032C
	s_mov_b64 s[60:61], 0                                      // 000000005EE4: BEBC0180
	v_readlane_b32 s82, v3, 8                                  // 000000005EE8: D2890052 00011103
	s_and_b32 s82, s82, 0xffffff                               // 000000005EF0: 8652FF52 00FFFFFF
	s_cmp_lt_u32 s82, s66                                      // 000000005EF8: BF0A4252
	s_cselect_b32 s20, s36, s60                                // 000000005EFC: 85143C24
	v_readlane_b32 s82, v3, 9                                  // 000000005F00: D2890052 00011303
	s_and_b32 s82, s82, 0xffffff                               // 000000005F08: 8652FF52 00FFFFFF
	s_cmp_lt_u32 s82, s66                                      // 000000005F10: BF0A4252
	s_cselect_b32 s21, s36, s60                                // 000000005F14: 85153C24
	s_mov_b64 exec, s[20:21]                                   // 000000005F18: BEFE0114
	global_atomic_add_f32 v6, v84, s[8:9]                      // 000000005F1C: DD348000 00085406
	global_atomic_add_f32 v6, v88, s[8:9] offset:256           // 000000005F24: DD348100 00085806
	global_atomic_add_f32 v6, v92, s[8:9] offset:512           // 000000005F2C: DD348200 00085C06
	global_atomic_add_f32 v6, v96, s[8:9] offset:768           // 000000005F34: DD348300 00086006
	s_mov_b64 exec, s[36:37]                                   // 000000005F3C: BEFE0124
	v_mov_b32_e32 v6, v45                                      // 000000005F40: 7E0C032D
	s_mov_b64 s[60:61], 0                                      // 000000005F44: BEBC0180
	v_readlane_b32 s82, v3, 10                                 // 000000005F48: D2890052 00011503
	s_and_b32 s82, s82, 0xffffff                               // 000000005F50: 8652FF52 00FFFFFF
	s_cmp_lt_u32 s82, s66                                      // 000000005F58: BF0A4252
	s_cselect_b32 s20, s36, s60                                // 000000005F5C: 85143C24
	v_readlane_b32 s82, v3, 11                                 // 000000005F60: D2890052 00011703
	s_and_b32 s82, s82, 0xffffff                               // 000000005F68: 8652FF52 00FFFFFF
	s_cmp_lt_u32 s82, s66                                      // 000000005F70: BF0A4252
	s_cselect_b32 s21, s36, s60                                // 000000005F74: 85153C24
	s_mov_b64 exec, s[20:21]                                   // 000000005F78: BEFE0114
	global_atomic_add_f32 v6, v85, s[8:9]                      // 000000005F7C: DD348000 00085506
	global_atomic_add_f32 v6, v89, s[8:9] offset:256           // 000000005F84: DD348100 00085906
	global_atomic_add_f32 v6, v93, s[8:9] offset:512           // 000000005F8C: DD348200 00085D06
	global_atomic_add_f32 v6, v97, s[8:9] offset:768           // 000000005F94: DD348300 00086106
	s_mov_b64 exec, s[36:37]                                   // 000000005F9C: BEFE0124
	ds_write_b64 v20, v[54:55]                                 // 000000005FA0: D89A0000 00003614
	ds_write_b64 v20, v[58:59] offset:8704                     // 000000005FA8: D89A2200 00003A14
	ds_write_b64 v20, v[62:63] offset:17408                    // 000000005FB0: D89A4400 00003E14
	ds_write_b64 v20, v[66:67] offset:2176                     // 000000005FB8: D89A0880 00004214
	ds_write_b64 v20, v[70:71] offset:10880                    // 000000005FC0: D89A2A80 00004614
	ds_write_b64 v20, v[74:75] offset:19584                    // 000000005FC8: D89A4C80 00004A14
	ds_write_b64 v20, v[78:79] offset:4352                     // 000000005FD0: D89A1100 00004E14
	ds_write_b64 v20, v[82:83] offset:13056                    // 000000005FD8: D89A3300 00005214
	ds_write_b64 v20, v[86:87] offset:21760                    // 000000005FE0: D89A5500 00005614
	ds_write_b64 v20, v[90:91] offset:6528                     // 000000005FE8: D89A1980 00005A14
	ds_write_b64 v20, v[94:95] offset:15232                    // 000000005FF0: D89A3B80 00005E14
	ds_write_b64 v20, v[98:99] offset:23936                    // 000000005FF8: D89A5D80 00006214
	s_waitcnt lgkmcnt(0)                                       // 000000006000: BF8CC07F
	s_barrier                                                  // 000000006004: BF8A0000
	ds_read_b32 v54, v21                                       // 000000006008: D86C0000 36000015
	ds_read_b32 v55, v21 offset:64                             // 000000006010: D86C0040 37000015
	ds_read_b32 v58, v21 offset:2176                           // 000000006018: D86C0880 3A000015
	ds_read_b32 v59, v21 offset:2240                           // 000000006020: D86C08C0 3B000015
	ds_read_b32 v62, v21 offset:4352                           // 000000006028: D86C1100 3E000015
	ds_read_b32 v63, v21 offset:4416                           // 000000006030: D86C1140 3F000015
	ds_read_b32 v66, v21 offset:6528                           // 000000006038: D86C1980 42000015
	ds_read_b32 v67, v21 offset:6592                           // 000000006040: D86C19C0 43000015
	ds_read_b32 v70, v21 offset:8704                           // 000000006048: D86C2200 46000015
	ds_read_b32 v71, v21 offset:8768                           // 000000006050: D86C2240 47000015
	ds_read_b32 v74, v21 offset:10880                          // 000000006058: D86C2A80 4A000015
	ds_read_b32 v75, v21 offset:10944                          // 000000006060: D86C2AC0 4B000015
	ds_read_b32 v78, v21 offset:13056                          // 000000006068: D86C3300 4E000015
	ds_read_b32 v79, v21 offset:13120                          // 000000006070: D86C3340 4F000015
	ds_read_b32 v82, v21 offset:15232                          // 000000006078: D86C3B80 52000015
	ds_read_b32 v83, v21 offset:15296                          // 000000006080: D86C3BC0 53000015
	ds_read_b32 v86, v21 offset:17408                          // 000000006088: D86C4400 56000015
	ds_read_b32 v87, v21 offset:17472                          // 000000006090: D86C4440 57000015
	ds_read_b32 v90, v21 offset:19584                          // 000000006098: D86C4C80 5A000015
	ds_read_b32 v91, v21 offset:19648                          // 0000000060A0: D86C4CC0 5B000015
	ds_read_b32 v94, v21 offset:21760                          // 0000000060A8: D86C5500 5E000015
	ds_read_b32 v95, v21 offset:21824                          // 0000000060B0: D86C5540 5F000015
	ds_read_b32 v98, v21 offset:23936                          // 0000000060B8: D86C5D80 62000015
	ds_read_b32 v99, v21 offset:24000                          // 0000000060C0: D86C5DC0 63000015
	s_waitcnt lgkmcnt(0)                                       // 0000000060C8: BF8CC07F
	v_mov_b32_e32 v7, 0                                        // 0000000060CC: 7E0E0280
	s_mov_b64 exec, s[36:37]                                   // 0000000060D0: BEFE0124
	v_mov_b32_e32 v6, v40                                      // 0000000060D4: 7E0C0328
	s_mov_b64 s[60:61], 0                                      // 0000000060D8: BEBC0180
	v_readlane_b32 s82, v3, 0                                  // 0000000060DC: D2890052 00010103
	s_and_b32 s82, s82, 0xffffff                               // 0000000060E4: 8652FF52 00FFFFFF
	s_cmp_lt_u32 s82, s66                                      // 0000000060EC: BF0A4252
	s_cselect_b32 s20, s36, s60                                // 0000000060F0: 85143C24
	v_readlane_b32 s82, v3, 1                                  // 0000000060F4: D2890052 00010303
	s_and_b32 s82, s82, 0xffffff                               // 0000000060FC: 8652FF52 00FFFFFF
	s_cmp_lt_u32 s82, s66                                      // 000000006104: BF0A4252
	s_cselect_b32 s21, s36, s60                                // 000000006108: 85153C24
	s_mov_b64 exec, s[20:21]                                   // 00000000610C: BEFE0114
	global_atomic_add_f32 v6, v54, s[8:9] offset:8             // 000000006110: DD348008 00083606
	global_atomic_add_f32 v6, v58, s[8:9] offset:264           // 000000006118: DD348108 00083A06
	global_atomic_add_f32 v6, v62, s[8:9] offset:520           // 000000006120: DD348208 00083E06
	global_atomic_add_f32 v6, v66, s[8:9] offset:776           // 000000006128: DD348308 00084206
	s_mov_b64 exec, s[36:37]                                   // 000000006130: BEFE0124
	v_mov_b32_e32 v6, v41                                      // 000000006134: 7E0C0329
	s_mov_b64 s[60:61], 0                                      // 000000006138: BEBC0180
	v_readlane_b32 s82, v3, 2                                  // 00000000613C: D2890052 00010503
	s_and_b32 s82, s82, 0xffffff                               // 000000006144: 8652FF52 00FFFFFF
	s_cmp_lt_u32 s82, s66                                      // 00000000614C: BF0A4252
	s_cselect_b32 s20, s36, s60                                // 000000006150: 85143C24
	v_readlane_b32 s82, v3, 3                                  // 000000006154: D2890052 00010703
	s_and_b32 s82, s82, 0xffffff                               // 00000000615C: 8652FF52 00FFFFFF
	s_cmp_lt_u32 s82, s66                                      // 000000006164: BF0A4252
	s_cselect_b32 s21, s36, s60                                // 000000006168: 85153C24
	s_mov_b64 exec, s[20:21]                                   // 00000000616C: BEFE0114
	global_atomic_add_f32 v6, v55, s[8:9] offset:8             // 000000006170: DD348008 00083706
	global_atomic_add_f32 v6, v59, s[8:9] offset:264           // 000000006178: DD348108 00083B06
	global_atomic_add_f32 v6, v63, s[8:9] offset:520           // 000000006180: DD348208 00083F06
	global_atomic_add_f32 v6, v67, s[8:9] offset:776           // 000000006188: DD348308 00084306
	s_mov_b64 exec, s[36:37]                                   // 000000006190: BEFE0124
	v_mov_b32_e32 v6, v42                                      // 000000006194: 7E0C032A
	s_mov_b64 s[60:61], 0                                      // 000000006198: BEBC0180
	v_readlane_b32 s82, v3, 4                                  // 00000000619C: D2890052 00010903
	s_and_b32 s82, s82, 0xffffff                               // 0000000061A4: 8652FF52 00FFFFFF
	s_cmp_lt_u32 s82, s66                                      // 0000000061AC: BF0A4252
	s_cselect_b32 s20, s36, s60                                // 0000000061B0: 85143C24
	v_readlane_b32 s82, v3, 5                                  // 0000000061B4: D2890052 00010B03
	s_and_b32 s82, s82, 0xffffff                               // 0000000061BC: 8652FF52 00FFFFFF
	s_cmp_lt_u32 s82, s66                                      // 0000000061C4: BF0A4252
	s_cselect_b32 s21, s36, s60                                // 0000000061C8: 85153C24
	s_mov_b64 exec, s[20:21]                                   // 0000000061CC: BEFE0114
	global_atomic_add_f32 v6, v70, s[8:9] offset:8             // 0000000061D0: DD348008 00084606
	global_atomic_add_f32 v6, v74, s[8:9] offset:264           // 0000000061D8: DD348108 00084A06
	global_atomic_add_f32 v6, v78, s[8:9] offset:520           // 0000000061E0: DD348208 00084E06
	global_atomic_add_f32 v6, v82, s[8:9] offset:776           // 0000000061E8: DD348308 00085206
	s_mov_b64 exec, s[36:37]                                   // 0000000061F0: BEFE0124
	v_mov_b32_e32 v6, v43                                      // 0000000061F4: 7E0C032B
	s_mov_b64 s[60:61], 0                                      // 0000000061F8: BEBC0180
	v_readlane_b32 s82, v3, 6                                  // 0000000061FC: D2890052 00010D03
	s_and_b32 s82, s82, 0xffffff                               // 000000006204: 8652FF52 00FFFFFF
	s_cmp_lt_u32 s82, s66                                      // 00000000620C: BF0A4252
	s_cselect_b32 s20, s36, s60                                // 000000006210: 85143C24
	v_readlane_b32 s82, v3, 7                                  // 000000006214: D2890052 00010F03
	s_and_b32 s82, s82, 0xffffff                               // 00000000621C: 8652FF52 00FFFFFF
	s_cmp_lt_u32 s82, s66                                      // 000000006224: BF0A4252
	s_cselect_b32 s21, s36, s60                                // 000000006228: 85153C24
	s_mov_b64 exec, s[20:21]                                   // 00000000622C: BEFE0114
	global_atomic_add_f32 v6, v71, s[8:9] offset:8             // 000000006230: DD348008 00084706
	global_atomic_add_f32 v6, v75, s[8:9] offset:264           // 000000006238: DD348108 00084B06
	global_atomic_add_f32 v6, v79, s[8:9] offset:520           // 000000006240: DD348208 00084F06
	global_atomic_add_f32 v6, v83, s[8:9] offset:776           // 000000006248: DD348308 00085306
	s_mov_b64 exec, s[36:37]                                   // 000000006250: BEFE0124
	v_mov_b32_e32 v6, v44                                      // 000000006254: 7E0C032C
	s_mov_b64 s[60:61], 0                                      // 000000006258: BEBC0180
	v_readlane_b32 s82, v3, 8                                  // 00000000625C: D2890052 00011103
	s_and_b32 s82, s82, 0xffffff                               // 000000006264: 8652FF52 00FFFFFF
	s_cmp_lt_u32 s82, s66                                      // 00000000626C: BF0A4252
	s_cselect_b32 s20, s36, s60                                // 000000006270: 85143C24
	v_readlane_b32 s82, v3, 9                                  // 000000006274: D2890052 00011303
	s_and_b32 s82, s82, 0xffffff                               // 00000000627C: 8652FF52 00FFFFFF
	s_cmp_lt_u32 s82, s66                                      // 000000006284: BF0A4252
	s_cselect_b32 s21, s36, s60                                // 000000006288: 85153C24
	s_mov_b64 exec, s[20:21]                                   // 00000000628C: BEFE0114
	global_atomic_add_f32 v6, v86, s[8:9] offset:8             // 000000006290: DD348008 00085606
	global_atomic_add_f32 v6, v90, s[8:9] offset:264           // 000000006298: DD348108 00085A06
	global_atomic_add_f32 v6, v94, s[8:9] offset:520           // 0000000062A0: DD348208 00085E06
	global_atomic_add_f32 v6, v98, s[8:9] offset:776           // 0000000062A8: DD348308 00086206
	s_mov_b64 exec, s[36:37]                                   // 0000000062B0: BEFE0124
	v_mov_b32_e32 v6, v45                                      // 0000000062B4: 7E0C032D
	s_mov_b64 s[60:61], 0                                      // 0000000062B8: BEBC0180
	v_readlane_b32 s82, v3, 10                                 // 0000000062BC: D2890052 00011503
	s_and_b32 s82, s82, 0xffffff                               // 0000000062C4: 8652FF52 00FFFFFF
	s_cmp_lt_u32 s82, s66                                      // 0000000062CC: BF0A4252
	s_cselect_b32 s20, s36, s60                                // 0000000062D0: 85143C24
	v_readlane_b32 s82, v3, 11                                 // 0000000062D4: D2890052 00011703
	s_and_b32 s82, s82, 0xffffff                               // 0000000062DC: 8652FF52 00FFFFFF
	s_cmp_lt_u32 s82, s66                                      // 0000000062E4: BF0A4252
	s_cselect_b32 s21, s36, s60                                // 0000000062E8: 85153C24
	s_mov_b64 exec, s[20:21]                                   // 0000000062EC: BEFE0114
	global_atomic_add_f32 v6, v87, s[8:9] offset:8             // 0000000062F0: DD348008 00085706
	global_atomic_add_f32 v6, v91, s[8:9] offset:264           // 0000000062F8: DD348108 00085B06
	global_atomic_add_f32 v6, v95, s[8:9] offset:520           // 000000006300: DD348208 00085F06
	global_atomic_add_f32 v6, v99, s[8:9] offset:776           // 000000006308: DD348308 00086306
	s_mov_b64 exec, s[36:37]                                   // 000000006310: BEFE0124
	ds_write_b64 v20, v[100:101]                               // 000000006314: D89A0000 00006414
	ds_write_b64 v20, v[104:105] offset:8704                   // 00000000631C: D89A2200 00006814
	ds_write_b64 v20, v[108:109] offset:17408                  // 000000006324: D89A4400 00006C14
	ds_write_b64 v20, v[112:113] offset:2176                   // 00000000632C: D89A0880 00007014
	ds_write_b64 v20, v[116:117] offset:10880                  // 000000006334: D89A2A80 00007414
	ds_write_b64 v20, v[120:121] offset:19584                  // 00000000633C: D89A4C80 00007814
	ds_write_b64 v20, v[124:125] offset:4352                   // 000000006344: D89A1100 00007C14
	ds_write_b64 v20, v[128:129] offset:13056                  // 00000000634C: D89A3300 00008014
	ds_write_b64 v20, v[132:133] offset:21760                  // 000000006354: D89A5500 00008414
	ds_write_b64 v20, v[136:137] offset:6528                   // 00000000635C: D89A1980 00008814
	ds_write_b64 v20, v[140:141] offset:15232                  // 000000006364: D89A3B80 00008C14
	ds_write_b64 v20, v[144:145] offset:23936                  // 00000000636C: D89A5D80 00009014
	s_waitcnt lgkmcnt(0)                                       // 000000006374: BF8CC07F
	s_barrier                                                  // 000000006378: BF8A0000
	ds_read_b32 v100, v21                                      // 00000000637C: D86C0000 64000015
	ds_read_b32 v101, v21 offset:64                            // 000000006384: D86C0040 65000015
	ds_read_b32 v104, v21 offset:2176                          // 00000000638C: D86C0880 68000015
	ds_read_b32 v105, v21 offset:2240                          // 000000006394: D86C08C0 69000015
	ds_read_b32 v108, v21 offset:4352                          // 00000000639C: D86C1100 6C000015
	ds_read_b32 v109, v21 offset:4416                          // 0000000063A4: D86C1140 6D000015
	ds_read_b32 v112, v21 offset:6528                          // 0000000063AC: D86C1980 70000015
	ds_read_b32 v113, v21 offset:6592                          // 0000000063B4: D86C19C0 71000015
	ds_read_b32 v116, v21 offset:8704                          // 0000000063BC: D86C2200 74000015
	ds_read_b32 v117, v21 offset:8768                          // 0000000063C4: D86C2240 75000015
	ds_read_b32 v120, v21 offset:10880                         // 0000000063CC: D86C2A80 78000015
	ds_read_b32 v121, v21 offset:10944                         // 0000000063D4: D86C2AC0 79000015
	ds_read_b32 v124, v21 offset:13056                         // 0000000063DC: D86C3300 7C000015
	ds_read_b32 v125, v21 offset:13120                         // 0000000063E4: D86C3340 7D000015
	ds_read_b32 v128, v21 offset:15232                         // 0000000063EC: D86C3B80 80000015
	ds_read_b32 v129, v21 offset:15296                         // 0000000063F4: D86C3BC0 81000015
	ds_read_b32 v132, v21 offset:17408                         // 0000000063FC: D86C4400 84000015
	ds_read_b32 v133, v21 offset:17472                         // 000000006404: D86C4440 85000015
	ds_read_b32 v136, v21 offset:19584                         // 00000000640C: D86C4C80 88000015
	ds_read_b32 v137, v21 offset:19648                         // 000000006414: D86C4CC0 89000015
	ds_read_b32 v140, v21 offset:21760                         // 00000000641C: D86C5500 8C000015
	ds_read_b32 v141, v21 offset:21824                         // 000000006424: D86C5540 8D000015
	ds_read_b32 v144, v21 offset:23936                         // 00000000642C: D86C5D80 90000015
	ds_read_b32 v145, v21 offset:24000                         // 000000006434: D86C5DC0 91000015
	s_mul_i32 s60, s65, 4                                      // 00000000643C: 923C8441
	s_add_u32 s8, s60, s8                                      // 000000006440: 8008083C
	s_addc_u32 s9, 0, s9                                       // 000000006444: 82090980
	s_waitcnt lgkmcnt(0)                                       // 000000006448: BF8CC07F
	v_mov_b32_e32 v7, 0                                        // 00000000644C: 7E0E0280
	s_mov_b64 exec, s[36:37]                                   // 000000006450: BEFE0124
	v_mov_b32_e32 v6, v40                                      // 000000006454: 7E0C0328
	s_mov_b64 s[60:61], 0                                      // 000000006458: BEBC0180
	v_readlane_b32 s82, v3, 0                                  // 00000000645C: D2890052 00010103
	s_and_b32 s82, s82, 0xffffff                               // 000000006464: 8652FF52 00FFFFFF
	s_cmp_lt_u32 s82, s66                                      // 00000000646C: BF0A4252
	s_cselect_b32 s20, s36, s60                                // 000000006470: 85143C24
	v_readlane_b32 s82, v3, 1                                  // 000000006474: D2890052 00010303
	s_and_b32 s82, s82, 0xffffff                               // 00000000647C: 8652FF52 00FFFFFF
	s_cmp_lt_u32 s82, s66                                      // 000000006484: BF0A4252
	s_cselect_b32 s21, s36, s60                                // 000000006488: 85153C24
	s_mov_b64 exec, s[20:21]                                   // 00000000648C: BEFE0114
	global_atomic_add_f32 v6, v100, s[8:9]                     // 000000006490: DD348000 00086406
	global_atomic_add_f32 v6, v104, s[8:9] offset:256          // 000000006498: DD348100 00086806
	global_atomic_add_f32 v6, v108, s[8:9] offset:512          // 0000000064A0: DD348200 00086C06
	global_atomic_add_f32 v6, v112, s[8:9] offset:768          // 0000000064A8: DD348300 00087006
	s_mov_b64 exec, s[36:37]                                   // 0000000064B0: BEFE0124
	v_mov_b32_e32 v6, v41                                      // 0000000064B4: 7E0C0329
	s_mov_b64 s[60:61], 0                                      // 0000000064B8: BEBC0180
	v_readlane_b32 s82, v3, 2                                  // 0000000064BC: D2890052 00010503
	s_and_b32 s82, s82, 0xffffff                               // 0000000064C4: 8652FF52 00FFFFFF
	s_cmp_lt_u32 s82, s66                                      // 0000000064CC: BF0A4252
	s_cselect_b32 s20, s36, s60                                // 0000000064D0: 85143C24
	v_readlane_b32 s82, v3, 3                                  // 0000000064D4: D2890052 00010703
	s_and_b32 s82, s82, 0xffffff                               // 0000000064DC: 8652FF52 00FFFFFF
	s_cmp_lt_u32 s82, s66                                      // 0000000064E4: BF0A4252
	s_cselect_b32 s21, s36, s60                                // 0000000064E8: 85153C24
	s_mov_b64 exec, s[20:21]                                   // 0000000064EC: BEFE0114
	global_atomic_add_f32 v6, v101, s[8:9]                     // 0000000064F0: DD348000 00086506
	global_atomic_add_f32 v6, v105, s[8:9] offset:256          // 0000000064F8: DD348100 00086906
	global_atomic_add_f32 v6, v109, s[8:9] offset:512          // 000000006500: DD348200 00086D06
	global_atomic_add_f32 v6, v113, s[8:9] offset:768          // 000000006508: DD348300 00087106
	s_mov_b64 exec, s[36:37]                                   // 000000006510: BEFE0124
	v_mov_b32_e32 v6, v42                                      // 000000006514: 7E0C032A
	s_mov_b64 s[60:61], 0                                      // 000000006518: BEBC0180
	v_readlane_b32 s82, v3, 4                                  // 00000000651C: D2890052 00010903
	s_and_b32 s82, s82, 0xffffff                               // 000000006524: 8652FF52 00FFFFFF
	s_cmp_lt_u32 s82, s66                                      // 00000000652C: BF0A4252
	s_cselect_b32 s20, s36, s60                                // 000000006530: 85143C24
	v_readlane_b32 s82, v3, 5                                  // 000000006534: D2890052 00010B03
	s_and_b32 s82, s82, 0xffffff                               // 00000000653C: 8652FF52 00FFFFFF
	s_cmp_lt_u32 s82, s66                                      // 000000006544: BF0A4252
	s_cselect_b32 s21, s36, s60                                // 000000006548: 85153C24
	s_mov_b64 exec, s[20:21]                                   // 00000000654C: BEFE0114
	global_atomic_add_f32 v6, v116, s[8:9]                     // 000000006550: DD348000 00087406
	global_atomic_add_f32 v6, v120, s[8:9] offset:256          // 000000006558: DD348100 00087806
	global_atomic_add_f32 v6, v124, s[8:9] offset:512          // 000000006560: DD348200 00087C06
	global_atomic_add_f32 v6, v128, s[8:9] offset:768          // 000000006568: DD348300 00088006
	s_mov_b64 exec, s[36:37]                                   // 000000006570: BEFE0124
	v_mov_b32_e32 v6, v43                                      // 000000006574: 7E0C032B
	s_mov_b64 s[60:61], 0                                      // 000000006578: BEBC0180
	v_readlane_b32 s82, v3, 6                                  // 00000000657C: D2890052 00010D03
	s_and_b32 s82, s82, 0xffffff                               // 000000006584: 8652FF52 00FFFFFF
	s_cmp_lt_u32 s82, s66                                      // 00000000658C: BF0A4252
	s_cselect_b32 s20, s36, s60                                // 000000006590: 85143C24
	v_readlane_b32 s82, v3, 7                                  // 000000006594: D2890052 00010F03
	s_and_b32 s82, s82, 0xffffff                               // 00000000659C: 8652FF52 00FFFFFF
	s_cmp_lt_u32 s82, s66                                      // 0000000065A4: BF0A4252
	s_cselect_b32 s21, s36, s60                                // 0000000065A8: 85153C24
	s_mov_b64 exec, s[20:21]                                   // 0000000065AC: BEFE0114
	global_atomic_add_f32 v6, v117, s[8:9]                     // 0000000065B0: DD348000 00087506
	global_atomic_add_f32 v6, v121, s[8:9] offset:256          // 0000000065B8: DD348100 00087906
	global_atomic_add_f32 v6, v125, s[8:9] offset:512          // 0000000065C0: DD348200 00087D06
	global_atomic_add_f32 v6, v129, s[8:9] offset:768          // 0000000065C8: DD348300 00088106
	s_mov_b64 exec, s[36:37]                                   // 0000000065D0: BEFE0124
	v_mov_b32_e32 v6, v44                                      // 0000000065D4: 7E0C032C
	s_mov_b64 s[60:61], 0                                      // 0000000065D8: BEBC0180
	v_readlane_b32 s82, v3, 8                                  // 0000000065DC: D2890052 00011103
	s_and_b32 s82, s82, 0xffffff                               // 0000000065E4: 8652FF52 00FFFFFF
	s_cmp_lt_u32 s82, s66                                      // 0000000065EC: BF0A4252
	s_cselect_b32 s20, s36, s60                                // 0000000065F0: 85143C24
	v_readlane_b32 s82, v3, 9                                  // 0000000065F4: D2890052 00011303
	s_and_b32 s82, s82, 0xffffff                               // 0000000065FC: 8652FF52 00FFFFFF
	s_cmp_lt_u32 s82, s66                                      // 000000006604: BF0A4252
	s_cselect_b32 s21, s36, s60                                // 000000006608: 85153C24
	s_mov_b64 exec, s[20:21]                                   // 00000000660C: BEFE0114
	global_atomic_add_f32 v6, v132, s[8:9]                     // 000000006610: DD348000 00088406
	global_atomic_add_f32 v6, v136, s[8:9] offset:256          // 000000006618: DD348100 00088806
	global_atomic_add_f32 v6, v140, s[8:9] offset:512          // 000000006620: DD348200 00088C06
	global_atomic_add_f32 v6, v144, s[8:9] offset:768          // 000000006628: DD348300 00089006
	s_mov_b64 exec, s[36:37]                                   // 000000006630: BEFE0124
	v_mov_b32_e32 v6, v45                                      // 000000006634: 7E0C032D
	s_mov_b64 s[60:61], 0                                      // 000000006638: BEBC0180
	v_readlane_b32 s82, v3, 10                                 // 00000000663C: D2890052 00011503
	s_and_b32 s82, s82, 0xffffff                               // 000000006644: 8652FF52 00FFFFFF
	s_cmp_lt_u32 s82, s66                                      // 00000000664C: BF0A4252
	s_cselect_b32 s20, s36, s60                                // 000000006650: 85143C24
	v_readlane_b32 s82, v3, 11                                 // 000000006654: D2890052 00011703
	s_and_b32 s82, s82, 0xffffff                               // 00000000665C: 8652FF52 00FFFFFF
	s_cmp_lt_u32 s82, s66                                      // 000000006664: BF0A4252
	s_cselect_b32 s21, s36, s60                                // 000000006668: 85153C24
	s_mov_b64 exec, s[20:21]                                   // 00000000666C: BEFE0114
	global_atomic_add_f32 v6, v133, s[8:9]                     // 000000006670: DD348000 00088506
	global_atomic_add_f32 v6, v137, s[8:9] offset:256          // 000000006678: DD348100 00088906
	global_atomic_add_f32 v6, v141, s[8:9] offset:512          // 000000006680: DD348200 00088D06
	global_atomic_add_f32 v6, v145, s[8:9] offset:768          // 000000006688: DD348300 00089106
	s_mov_b64 exec, s[36:37]                                   // 000000006690: BEFE0124
	ds_write_b64 v20, v[102:103]                               // 000000006694: D89A0000 00006614
	ds_write_b64 v20, v[106:107] offset:8704                   // 00000000669C: D89A2200 00006A14
	ds_write_b64 v20, v[110:111] offset:17408                  // 0000000066A4: D89A4400 00006E14
	ds_write_b64 v20, v[114:115] offset:2176                   // 0000000066AC: D89A0880 00007214
	ds_write_b64 v20, v[118:119] offset:10880                  // 0000000066B4: D89A2A80 00007614
	ds_write_b64 v20, v[122:123] offset:19584                  // 0000000066BC: D89A4C80 00007A14
	ds_write_b64 v20, v[126:127] offset:4352                   // 0000000066C4: D89A1100 00007E14
	ds_write_b64 v20, v[130:131] offset:13056                  // 0000000066CC: D89A3300 00008214
	ds_write_b64 v20, v[134:135] offset:21760                  // 0000000066D4: D89A5500 00008614
	ds_write_b64 v20, v[138:139] offset:6528                   // 0000000066DC: D89A1980 00008A14
	ds_write_b64 v20, v[142:143] offset:15232                  // 0000000066E4: D89A3B80 00008E14
	ds_write_b64 v20, v[146:147] offset:23936                  // 0000000066EC: D89A5D80 00009214
	s_waitcnt lgkmcnt(0)                                       // 0000000066F4: BF8CC07F
	s_barrier                                                  // 0000000066F8: BF8A0000
	ds_read_b32 v102, v21                                      // 0000000066FC: D86C0000 66000015
	ds_read_b32 v103, v21 offset:64                            // 000000006704: D86C0040 67000015
	ds_read_b32 v106, v21 offset:2176                          // 00000000670C: D86C0880 6A000015
	ds_read_b32 v107, v21 offset:2240                          // 000000006714: D86C08C0 6B000015
	ds_read_b32 v110, v21 offset:4352                          // 00000000671C: D86C1100 6E000015
	ds_read_b32 v111, v21 offset:4416                          // 000000006724: D86C1140 6F000015
	ds_read_b32 v114, v21 offset:6528                          // 00000000672C: D86C1980 72000015
	ds_read_b32 v115, v21 offset:6592                          // 000000006734: D86C19C0 73000015
	ds_read_b32 v118, v21 offset:8704                          // 00000000673C: D86C2200 76000015
	ds_read_b32 v119, v21 offset:8768                          // 000000006744: D86C2240 77000015
	ds_read_b32 v122, v21 offset:10880                         // 00000000674C: D86C2A80 7A000015
	ds_read_b32 v123, v21 offset:10944                         // 000000006754: D86C2AC0 7B000015
	ds_read_b32 v126, v21 offset:13056                         // 00000000675C: D86C3300 7E000015
	ds_read_b32 v127, v21 offset:13120                         // 000000006764: D86C3340 7F000015
	ds_read_b32 v130, v21 offset:15232                         // 00000000676C: D86C3B80 82000015
	ds_read_b32 v131, v21 offset:15296                         // 000000006774: D86C3BC0 83000015
	ds_read_b32 v134, v21 offset:17408                         // 00000000677C: D86C4400 86000015
	ds_read_b32 v135, v21 offset:17472                         // 000000006784: D86C4440 87000015
	ds_read_b32 v138, v21 offset:19584                         // 00000000678C: D86C4C80 8A000015
	ds_read_b32 v139, v21 offset:19648                         // 000000006794: D86C4CC0 8B000015
	ds_read_b32 v142, v21 offset:21760                         // 00000000679C: D86C5500 8E000015
	ds_read_b32 v143, v21 offset:21824                         // 0000000067A4: D86C5540 8F000015
	ds_read_b32 v146, v21 offset:23936                         // 0000000067AC: D86C5D80 92000015
	ds_read_b32 v147, v21 offset:24000                         // 0000000067B4: D86C5DC0 93000015
	s_waitcnt lgkmcnt(0)                                       // 0000000067BC: BF8CC07F
	v_mov_b32_e32 v7, 0                                        // 0000000067C0: 7E0E0280
	s_mov_b64 exec, s[36:37]                                   // 0000000067C4: BEFE0124
	v_mov_b32_e32 v6, v40                                      // 0000000067C8: 7E0C0328
	s_mov_b64 s[60:61], 0                                      // 0000000067CC: BEBC0180
	v_readlane_b32 s82, v3, 0                                  // 0000000067D0: D2890052 00010103
	s_and_b32 s82, s82, 0xffffff                               // 0000000067D8: 8652FF52 00FFFFFF
	s_cmp_lt_u32 s82, s66                                      // 0000000067E0: BF0A4252
	s_cselect_b32 s20, s36, s60                                // 0000000067E4: 85143C24
	v_readlane_b32 s82, v3, 1                                  // 0000000067E8: D2890052 00010303
	s_and_b32 s82, s82, 0xffffff                               // 0000000067F0: 8652FF52 00FFFFFF
	s_cmp_lt_u32 s82, s66                                      // 0000000067F8: BF0A4252
	s_cselect_b32 s21, s36, s60                                // 0000000067FC: 85153C24
	s_mov_b64 exec, s[20:21]                                   // 000000006800: BEFE0114
	global_atomic_add_f32 v6, v102, s[8:9] offset:8            // 000000006804: DD348008 00086606
	global_atomic_add_f32 v6, v106, s[8:9] offset:264          // 00000000680C: DD348108 00086A06
	global_atomic_add_f32 v6, v110, s[8:9] offset:520          // 000000006814: DD348208 00086E06
	global_atomic_add_f32 v6, v114, s[8:9] offset:776          // 00000000681C: DD348308 00087206
	s_mov_b64 exec, s[36:37]                                   // 000000006824: BEFE0124
	v_mov_b32_e32 v6, v41                                      // 000000006828: 7E0C0329
	s_mov_b64 s[60:61], 0                                      // 00000000682C: BEBC0180
	v_readlane_b32 s82, v3, 2                                  // 000000006830: D2890052 00010503
	s_and_b32 s82, s82, 0xffffff                               // 000000006838: 8652FF52 00FFFFFF
	s_cmp_lt_u32 s82, s66                                      // 000000006840: BF0A4252
	s_cselect_b32 s20, s36, s60                                // 000000006844: 85143C24
	v_readlane_b32 s82, v3, 3                                  // 000000006848: D2890052 00010703
	s_and_b32 s82, s82, 0xffffff                               // 000000006850: 8652FF52 00FFFFFF
	s_cmp_lt_u32 s82, s66                                      // 000000006858: BF0A4252
	s_cselect_b32 s21, s36, s60                                // 00000000685C: 85153C24
	s_mov_b64 exec, s[20:21]                                   // 000000006860: BEFE0114
	global_atomic_add_f32 v6, v103, s[8:9] offset:8            // 000000006864: DD348008 00086706
	global_atomic_add_f32 v6, v107, s[8:9] offset:264          // 00000000686C: DD348108 00086B06
	global_atomic_add_f32 v6, v111, s[8:9] offset:520          // 000000006874: DD348208 00086F06
	global_atomic_add_f32 v6, v115, s[8:9] offset:776          // 00000000687C: DD348308 00087306
	s_mov_b64 exec, s[36:37]                                   // 000000006884: BEFE0124
	v_mov_b32_e32 v6, v42                                      // 000000006888: 7E0C032A
	s_mov_b64 s[60:61], 0                                      // 00000000688C: BEBC0180
	v_readlane_b32 s82, v3, 4                                  // 000000006890: D2890052 00010903
	s_and_b32 s82, s82, 0xffffff                               // 000000006898: 8652FF52 00FFFFFF
	s_cmp_lt_u32 s82, s66                                      // 0000000068A0: BF0A4252
	s_cselect_b32 s20, s36, s60                                // 0000000068A4: 85143C24
	v_readlane_b32 s82, v3, 5                                  // 0000000068A8: D2890052 00010B03
	s_and_b32 s82, s82, 0xffffff                               // 0000000068B0: 8652FF52 00FFFFFF
	s_cmp_lt_u32 s82, s66                                      // 0000000068B8: BF0A4252
	s_cselect_b32 s21, s36, s60                                // 0000000068BC: 85153C24
	s_mov_b64 exec, s[20:21]                                   // 0000000068C0: BEFE0114
	global_atomic_add_f32 v6, v118, s[8:9] offset:8            // 0000000068C4: DD348008 00087606
	global_atomic_add_f32 v6, v122, s[8:9] offset:264          // 0000000068CC: DD348108 00087A06
	global_atomic_add_f32 v6, v126, s[8:9] offset:520          // 0000000068D4: DD348208 00087E06
	global_atomic_add_f32 v6, v130, s[8:9] offset:776          // 0000000068DC: DD348308 00088206
	s_mov_b64 exec, s[36:37]                                   // 0000000068E4: BEFE0124
	v_mov_b32_e32 v6, v43                                      // 0000000068E8: 7E0C032B
	s_mov_b64 s[60:61], 0                                      // 0000000068EC: BEBC0180
	v_readlane_b32 s82, v3, 6                                  // 0000000068F0: D2890052 00010D03
	s_and_b32 s82, s82, 0xffffff                               // 0000000068F8: 8652FF52 00FFFFFF
	s_cmp_lt_u32 s82, s66                                      // 000000006900: BF0A4252
	s_cselect_b32 s20, s36, s60                                // 000000006904: 85143C24
	v_readlane_b32 s82, v3, 7                                  // 000000006908: D2890052 00010F03
	s_and_b32 s82, s82, 0xffffff                               // 000000006910: 8652FF52 00FFFFFF
	s_cmp_lt_u32 s82, s66                                      // 000000006918: BF0A4252
	s_cselect_b32 s21, s36, s60                                // 00000000691C: 85153C24
	s_mov_b64 exec, s[20:21]                                   // 000000006920: BEFE0114
	global_atomic_add_f32 v6, v119, s[8:9] offset:8            // 000000006924: DD348008 00087706
	global_atomic_add_f32 v6, v123, s[8:9] offset:264          // 00000000692C: DD348108 00087B06
	global_atomic_add_f32 v6, v127, s[8:9] offset:520          // 000000006934: DD348208 00087F06
	global_atomic_add_f32 v6, v131, s[8:9] offset:776          // 00000000693C: DD348308 00088306
	s_mov_b64 exec, s[36:37]                                   // 000000006944: BEFE0124
	v_mov_b32_e32 v6, v44                                      // 000000006948: 7E0C032C
	s_mov_b64 s[60:61], 0                                      // 00000000694C: BEBC0180
	v_readlane_b32 s82, v3, 8                                  // 000000006950: D2890052 00011103
	s_and_b32 s82, s82, 0xffffff                               // 000000006958: 8652FF52 00FFFFFF
	s_cmp_lt_u32 s82, s66                                      // 000000006960: BF0A4252
	s_cselect_b32 s20, s36, s60                                // 000000006964: 85143C24
	v_readlane_b32 s82, v3, 9                                  // 000000006968: D2890052 00011303
	s_and_b32 s82, s82, 0xffffff                               // 000000006970: 8652FF52 00FFFFFF
	s_cmp_lt_u32 s82, s66                                      // 000000006978: BF0A4252
	s_cselect_b32 s21, s36, s60                                // 00000000697C: 85153C24
	s_mov_b64 exec, s[20:21]                                   // 000000006980: BEFE0114
	global_atomic_add_f32 v6, v134, s[8:9] offset:8            // 000000006984: DD348008 00088606
	global_atomic_add_f32 v6, v138, s[8:9] offset:264          // 00000000698C: DD348108 00088A06
	global_atomic_add_f32 v6, v142, s[8:9] offset:520          // 000000006994: DD348208 00088E06
	global_atomic_add_f32 v6, v146, s[8:9] offset:776          // 00000000699C: DD348308 00089206
	s_mov_b64 exec, s[36:37]                                   // 0000000069A4: BEFE0124
	v_mov_b32_e32 v6, v45                                      // 0000000069A8: 7E0C032D
	s_mov_b64 s[60:61], 0                                      // 0000000069AC: BEBC0180
	v_readlane_b32 s82, v3, 10                                 // 0000000069B0: D2890052 00011503
	s_and_b32 s82, s82, 0xffffff                               // 0000000069B8: 8652FF52 00FFFFFF
	s_cmp_lt_u32 s82, s66                                      // 0000000069C0: BF0A4252
	s_cselect_b32 s20, s36, s60                                // 0000000069C4: 85143C24
	v_readlane_b32 s82, v3, 11                                 // 0000000069C8: D2890052 00011703
	s_and_b32 s82, s82, 0xffffff                               // 0000000069D0: 8652FF52 00FFFFFF
	s_cmp_lt_u32 s82, s66                                      // 0000000069D8: BF0A4252
	s_cselect_b32 s21, s36, s60                                // 0000000069DC: 85153C24
	s_mov_b64 exec, s[20:21]                                   // 0000000069E0: BEFE0114
	global_atomic_add_f32 v6, v135, s[8:9] offset:8            // 0000000069E4: DD348008 00088706
	global_atomic_add_f32 v6, v139, s[8:9] offset:264          // 0000000069EC: DD348108 00088B06
	global_atomic_add_f32 v6, v143, s[8:9] offset:520          // 0000000069F4: DD348208 00088F06
	global_atomic_add_f32 v6, v147, s[8:9] offset:776          // 0000000069FC: DD348308 00089306
	s_mov_b64 exec, s[36:37]                                   // 000000006A04: BEFE0124
	s_branch label_1DA9                                        // 000000006A08: BF820DA3

0000000000006a0c <label_1006>:
	s_waitcnt vmcnt(6) lgkmcnt(0)                              // 000000006A0C: BF8C0076
	s_barrier                                                  // 000000006A10: BF8A0000
	v_mfma_f32_16x16x32_fp8_fp8 v[52:55], a[48:49], a[0:1], v[52:55]// 000000006A14: D3F30034 1CD20130
	buffer_load_dwordx4 a[80:83], v46, s[84:87], 0 offen       // 000000006A1C: E05C1000 8095502E
	v_mfma_f32_16x16x32_fp8_fp8 v[52:55], a[50:51], a[2:3], v[52:55]// 000000006A24: D3F30034 1CD20532
	v_mfma_f32_16x16x32_fp8_fp8 v[52:55], a[52:53], a[4:5], v[52:55]// 000000006A2C: D3F30034 1CD20934
	v_mfma_f32_16x16x32_fp8_fp8 v[52:55], a[54:55], a[6:7], v[52:55]// 000000006A34: D3F30034 1CD20D36
	v_mfma_f32_16x16x32_fp8_fp8 v[56:59], a[48:49], a[8:9], v[56:59]// 000000006A3C: D3F30038 1CE21130
	buffer_load_dwordx4 a[84:87], v46, s[84:87], 0 offen offset:1024// 000000006A44: E05C1400 8095542E
	v_mfma_f32_16x16x32_fp8_fp8 v[56:59], a[50:51], a[10:11], v[56:59]// 000000006A4C: D3F30038 1CE21532
	v_mfma_f32_16x16x32_fp8_fp8 v[56:59], a[52:53], a[12:13], v[56:59]// 000000006A54: D3F30038 1CE21934
	v_mfma_f32_16x16x32_fp8_fp8 v[56:59], a[54:55], a[14:15], v[56:59]// 000000006A5C: D3F30038 1CE21D36
	v_mfma_f32_16x16x32_fp8_fp8 v[60:63], a[48:49], a[16:17], v[60:63]// 000000006A64: D3F3003C 1CF22130
	buffer_load_dwordx4 a[88:91], v47, s[84:87], 0 offen       // 000000006A6C: E05C1000 8095582F
	v_mfma_f32_16x16x32_fp8_fp8 v[60:63], a[50:51], a[18:19], v[60:63]// 000000006A74: D3F3003C 1CF22532
	v_mfma_f32_16x16x32_fp8_fp8 v[60:63], a[52:53], a[20:21], v[60:63]// 000000006A7C: D3F3003C 1CF22934
	v_mfma_f32_16x16x32_fp8_fp8 v[60:63], a[54:55], a[22:23], v[60:63]// 000000006A84: D3F3003C 1CF22D36
	s_waitcnt vmcnt(7)                                         // 000000006A8C: BF8C0F77
	v_mfma_f32_16x16x32_fp8_fp8 v[64:67], a[56:57], a[0:1], v[64:67]// 000000006A90: D3F30040 1D020138
	buffer_load_dwordx4 a[92:95], v47, s[84:87], 0 offen offset:1024// 000000006A98: E05C1400 80955C2F
	v_mfma_f32_16x16x32_fp8_fp8 v[64:67], a[58:59], a[2:3], v[64:67]// 000000006AA0: D3F30040 1D02053A
	v_mfma_f32_16x16x32_fp8_fp8 v[64:67], a[60:61], a[4:5], v[64:67]// 000000006AA8: D3F30040 1D02093C
	v_mfma_f32_16x16x32_fp8_fp8 v[64:67], a[62:63], a[6:7], v[64:67]// 000000006AB0: D3F30040 1D020D3E
	v_mfma_f32_16x16x32_fp8_fp8 v[68:71], a[56:57], a[8:9], v[68:71]// 000000006AB8: D3F30044 1D121138
	buffer_load_dwordx4 a[96:99], v48, s[84:87], 0 offen       // 000000006AC0: E05C1000 80956030
	v_mfma_f32_16x16x32_fp8_fp8 v[68:71], a[58:59], a[10:11], v[68:71]// 000000006AC8: D3F30044 1D12153A
	v_mfma_f32_16x16x32_fp8_fp8 v[68:71], a[60:61], a[12:13], v[68:71]// 000000006AD0: D3F30044 1D12193C
	v_mfma_f32_16x16x32_fp8_fp8 v[68:71], a[62:63], a[14:15], v[68:71]// 000000006AD8: D3F30044 1D121D3E
	v_mfma_f32_16x16x32_fp8_fp8 v[72:75], a[56:57], a[16:17], v[72:75]// 000000006AE0: D3F30048 1D222138
	buffer_load_dwordx4 a[100:103], v48, s[84:87], 0 offen offset:1024// 000000006AE8: E05C1400 80956430
	v_mfma_f32_16x16x32_fp8_fp8 v[72:75], a[58:59], a[18:19], v[72:75]// 000000006AF0: D3F30048 1D22253A
	v_mfma_f32_16x16x32_fp8_fp8 v[72:75], a[60:61], a[20:21], v[72:75]// 000000006AF8: D3F30048 1D22293C
	v_mfma_f32_16x16x32_fp8_fp8 v[72:75], a[62:63], a[22:23], v[72:75]// 000000006B00: D3F30048 1D222D3E
	s_waitcnt vmcnt(8)                                         // 000000006B08: BF8C0F78
	v_mfma_f32_16x16x32_fp8_fp8 v[76:79], a[64:65], a[0:1], v[76:79]// 000000006B0C: D3F3004C 1D320140
	buffer_load_dwordx4 a[104:107], v49, s[84:87], 0 offen     // 000000006B14: E05C1000 80956831
	v_mfma_f32_16x16x32_fp8_fp8 v[76:79], a[66:67], a[2:3], v[76:79]// 000000006B1C: D3F3004C 1D320542
	v_mfma_f32_16x16x32_fp8_fp8 v[76:79], a[68:69], a[4:5], v[76:79]// 000000006B24: D3F3004C 1D320944
	v_mfma_f32_16x16x32_fp8_fp8 v[76:79], a[70:71], a[6:7], v[76:79]// 000000006B2C: D3F3004C 1D320D46
	v_mfma_f32_16x16x32_fp8_fp8 v[80:83], a[64:65], a[8:9], v[80:83]// 000000006B34: D3F30050 1D421140
	buffer_load_dwordx4 a[108:111], v49, s[84:87], 0 offen offset:1024// 000000006B3C: E05C1400 80956C31
	buffer_load_dword v40, s[20:23], 0 offen lds               // 000000006B44: E0511000 80050028
	s_add_u32 m0, 0x100, s48                                   // 000000006B4C: 807C30FF 00000100
	v_mfma_f32_16x16x32_fp8_fp8 v[80:83], a[66:67], a[10:11], v[80:83]// 000000006B54: D3F30050 1D421542
	v_mfma_f32_16x16x32_fp8_fp8 v[80:83], a[68:69], a[12:13], v[80:83]// 000000006B5C: D3F30050 1D421944
	buffer_load_dword v41, s[20:23], 0 offen lds               // 000000006B64: E0511000 80050029
	s_add_u32 m0, 0x200, s48                                   // 000000006B6C: 807C30FF 00000200
	v_mfma_f32_16x16x32_fp8_fp8 v[80:83], a[70:71], a[14:15], v[80:83]// 000000006B74: D3F30050 1D421D46
	v_mfma_f32_16x16x32_fp8_fp8 v[84:87], a[64:65], a[16:17], v[84:87]// 000000006B7C: D3F30054 1D522140
	buffer_load_dword v42, s[20:23], 0 offen lds               // 000000006B84: E0511000 8005002A
	s_add_u32 m0, 0x300, s48                                   // 000000006B8C: 807C30FF 00000300
	v_mfma_f32_16x16x32_fp8_fp8 v[84:87], a[66:67], a[18:19], v[84:87]// 000000006B94: D3F30054 1D522542
	v_mfma_f32_16x16x32_fp8_fp8 v[84:87], a[68:69], a[20:21], v[84:87]// 000000006B9C: D3F30054 1D522944
	buffer_load_dword v43, s[20:23], 0 offen lds               // 000000006BA4: E0511000 8005002B
	s_add_u32 m0, 0x400, s48                                   // 000000006BAC: 807C30FF 00000400
	v_mfma_f32_16x16x32_fp8_fp8 v[84:87], a[70:71], a[22:23], v[84:87]// 000000006BB4: D3F30054 1D522D46
	s_waitcnt vmcnt(12)                                        // 000000006BBC: BF8C0F7C
	v_mfma_f32_16x16x32_fp8_fp8 v[88:91], a[72:73], a[0:1], v[88:91]// 000000006BC0: D3F30058 1D620148
	buffer_load_dword v44, s[20:23], 0 offen lds               // 000000006BC8: E0511000 8005002C
	s_add_u32 m0, 0x500, s48                                   // 000000006BD0: 807C30FF 00000500
	v_mfma_f32_16x16x32_fp8_fp8 v[88:91], a[74:75], a[2:3], v[88:91]// 000000006BD8: D3F30058 1D62054A
	v_mfma_f32_16x16x32_fp8_fp8 v[88:91], a[76:77], a[4:5], v[88:91]// 000000006BE0: D3F30058 1D62094C
	buffer_load_dword v45, s[20:23], 0 offen lds               // 000000006BE8: E0511000 8005002D
	s_add_u32 m0, 0, s49                                       // 000000006BF0: 807C3180
	v_mfma_f32_16x16x32_fp8_fp8 v[88:91], a[78:79], a[6:7], v[88:91]// 000000006BF4: D3F30058 1D620D4E
	v_mfma_f32_16x16x32_fp8_fp8 v[92:95], a[72:73], a[8:9], v[92:95]// 000000006BFC: D3F3005C 1D721148
	v_mfma_f32_16x16x32_fp8_fp8 v[92:95], a[74:75], a[10:11], v[92:95]// 000000006C04: D3F3005C 1D72154A
	v_mfma_f32_16x16x32_fp8_fp8 v[92:95], a[76:77], a[12:13], v[92:95]// 000000006C0C: D3F3005C 1D72194C
	v_mfma_f32_16x16x32_fp8_fp8 v[92:95], a[78:79], a[14:15], v[92:95]// 000000006C14: D3F3005C 1D721D4E
	v_mfma_f32_16x16x32_fp8_fp8 v[96:99], a[72:73], a[16:17], v[96:99]// 000000006C1C: D3F30060 1D822148
	v_mfma_f32_16x16x32_fp8_fp8 v[96:99], a[74:75], a[18:19], v[96:99]// 000000006C24: D3F30060 1D82254A
	s_add_u32 s60, 0x80, s80                                   // 000000006C2C: 803C50FF 00000080
	s_cmp_lt_u32 s60, s81                                      // 000000006C34: BF0A513C
	s_cselect_b32 s83, s83, 0                                  // 000000006C38: 85538053
	v_mfma_f32_16x16x32_fp8_fp8 v[96:99], a[76:77], a[20:21], v[96:99]// 000000006C3C: D3F30060 1D82294C
	v_mfma_f32_16x16x32_fp8_fp8 v[96:99], a[78:79], a[22:23], v[96:99]// 000000006C44: D3F30060 1D822D4E
	s_waitcnt vmcnt(6)                                         // 000000006C4C: BF8C0F76
	v_mfma_f32_16x16x32_fp8_fp8 v[100:103], a[80:81], a[0:1], v[100:103]// 000000006C50: D3F30064 1D920150
	buffer_load_dwordx4 a[48:51], v46, s[24:27], 0 offen       // 000000006C58: E05C1000 8086302E
	v_mfma_f32_16x16x32_fp8_fp8 v[100:103], a[82:83], a[2:3], v[100:103]// 000000006C60: D3F30064 1D920552
	v_mfma_f32_16x16x32_fp8_fp8 v[100:103], a[84:85], a[4:5], v[100:103]// 000000006C68: D3F30064 1D920954
	ds_read_b128 a[24:27], v2 offset:6272                      // 000000006C70: DBFE1880 18000002
	ds_read_b128 a[28:31], v2 offset:6336                      // 000000006C78: DBFE18C0 1C000002
	v_mfma_f32_16x16x32_fp8_fp8 v[100:103], a[86:87], a[6:7], v[100:103]// 000000006C80: D3F30064 1D920D56
	v_mfma_f32_16x16x32_fp8_fp8 v[112:115], a[88:89], a[0:1], v[112:115]// 000000006C88: D3F30070 1DC20158
	buffer_load_dwordx4 a[52:55], v46, s[24:27], 0 offen offset:1024// 000000006C90: E05C1400 8086342E
	v_mfma_f32_16x16x32_fp8_fp8 v[112:115], a[90:91], a[2:3], v[112:115]// 000000006C98: D3F30070 1DC2055A
	v_mfma_f32_16x16x32_fp8_fp8 v[112:115], a[92:93], a[4:5], v[112:115]// 000000006CA0: D3F30070 1DC2095C
	ds_read_b128 a[32:35], v2 offset:6784                      // 000000006CA8: DBFE1A80 20000002
	ds_read_b128 a[36:39], v2 offset:6848                      // 000000006CB0: DBFE1AC0 24000002
	v_mfma_f32_16x16x32_fp8_fp8 v[112:115], a[94:95], a[6:7], v[112:115]// 000000006CB8: D3F30070 1DC20D5E
	v_mfma_f32_16x16x32_fp8_fp8 v[124:127], a[96:97], a[0:1], v[124:127]// 000000006CC0: D3F3007C 1DF20160
	buffer_load_dwordx4 a[56:59], v47, s[24:27], 0 offen       // 000000006CC8: E05C1000 8086382F
	v_mfma_f32_16x16x32_fp8_fp8 v[124:127], a[98:99], a[2:3], v[124:127]// 000000006CD0: D3F3007C 1DF20562
	v_mfma_f32_16x16x32_fp8_fp8 v[124:127], a[100:101], a[4:5], v[124:127]// 000000006CD8: D3F3007C 1DF20964
	ds_read_b128 a[40:43], v2 offset:7296                      // 000000006CE0: DBFE1C80 28000002
	ds_read_b128 a[44:47], v2 offset:7360                      // 000000006CE8: DBFE1CC0 2C000002
	v_mfma_f32_16x16x32_fp8_fp8 v[124:127], a[102:103], a[6:7], v[124:127]// 000000006CF0: D3F3007C 1DF20D66
	v_mfma_f32_16x16x32_fp8_fp8 v[136:139], a[104:105], a[0:1], v[136:139]// 000000006CF8: D3F30088 1E220168
	buffer_load_dwordx4 a[60:63], v47, s[24:27], 0 offen offset:1024// 000000006D00: E05C1400 80863C2F
	v_mfma_f32_16x16x32_fp8_fp8 v[136:139], a[106:107], a[2:3], v[136:139]// 000000006D08: D3F30088 1E22056A
	v_mfma_f32_16x16x32_fp8_fp8 v[136:139], a[108:109], a[4:5], v[136:139]// 000000006D10: D3F30088 1E22096C
	v_mfma_f32_16x16x32_fp8_fp8 v[136:139], a[110:111], a[6:7], v[136:139]// 000000006D18: D3F30088 1E220D6E
	v_mfma_f32_16x16x32_fp8_fp8 v[104:107], a[80:81], a[8:9], v[104:107]// 000000006D20: D3F30068 1DA21150
	buffer_load_dwordx4 a[64:67], v48, s[24:27], 0 offen       // 000000006D28: E05C1000 80864030
	v_mfma_f32_16x16x32_fp8_fp8 v[104:107], a[82:83], a[10:11], v[104:107]// 000000006D30: D3F30068 1DA21552
	v_mfma_f32_16x16x32_fp8_fp8 v[104:107], a[84:85], a[12:13], v[104:107]// 000000006D38: D3F30068 1DA21954
	v_mfma_f32_16x16x32_fp8_fp8 v[104:107], a[86:87], a[14:15], v[104:107]// 000000006D40: D3F30068 1DA21D56
	v_mfma_f32_16x16x32_fp8_fp8 v[116:119], a[88:89], a[8:9], v[116:119]// 000000006D48: D3F30074 1DD21158
	buffer_load_dwordx4 a[68:71], v48, s[24:27], 0 offen offset:1024// 000000006D50: E05C1400 80864430
	v_mfma_f32_16x16x32_fp8_fp8 v[116:119], a[90:91], a[10:11], v[116:119]// 000000006D58: D3F30074 1DD2155A
	v_mfma_f32_16x16x32_fp8_fp8 v[116:119], a[92:93], a[12:13], v[116:119]// 000000006D60: D3F30074 1DD2195C
	v_mfma_f32_16x16x32_fp8_fp8 v[116:119], a[94:95], a[14:15], v[116:119]// 000000006D68: D3F30074 1DD21D5E
	v_mfma_f32_16x16x32_fp8_fp8 v[128:131], a[96:97], a[8:9], v[128:131]// 000000006D70: D3F30080 1E021160
	buffer_load_dwordx4 a[72:75], v49, s[24:27], 0 offen       // 000000006D78: E05C1000 80864831
	v_mfma_f32_16x16x32_fp8_fp8 v[128:131], a[98:99], a[10:11], v[128:131]// 000000006D80: D3F30080 1E021562
	v_mfma_f32_16x16x32_fp8_fp8 v[128:131], a[100:101], a[12:13], v[128:131]// 000000006D88: D3F30080 1E021964
	v_mfma_f32_16x16x32_fp8_fp8 v[128:131], a[102:103], a[14:15], v[128:131]// 000000006D90: D3F30080 1E021D66
	v_mfma_f32_16x16x32_fp8_fp8 v[140:143], a[104:105], a[8:9], v[140:143]// 000000006D98: D3F3008C 1E321168
	buffer_load_dwordx4 a[76:79], v49, s[24:27], 0 offen offset:1024// 000000006DA0: E05C1400 80864C31
	v_mfma_f32_16x16x32_fp8_fp8 v[140:143], a[106:107], a[10:11], v[140:143]// 000000006DA8: D3F3008C 1E32156A
	v_mfma_f32_16x16x32_fp8_fp8 v[140:143], a[108:109], a[12:13], v[140:143]// 000000006DB0: D3F3008C 1E32196C
	v_mfma_f32_16x16x32_fp8_fp8 v[140:143], a[110:111], a[14:15], v[140:143]// 000000006DB8: D3F3008C 1E321D6E
	v_mfma_f32_16x16x32_fp8_fp8 v[108:111], a[80:81], a[16:17], v[108:111]// 000000006DC0: D3F3006C 1DB22150
	v_mfma_f32_16x16x32_fp8_fp8 v[108:111], a[82:83], a[18:19], v[108:111]// 000000006DC8: D3F3006C 1DB22552
	v_mfma_f32_16x16x32_fp8_fp8 v[108:111], a[84:85], a[20:21], v[108:111]// 000000006DD0: D3F3006C 1DB22954
	v_mfma_f32_16x16x32_fp8_fp8 v[108:111], a[86:87], a[22:23], v[108:111]// 000000006DD8: D3F3006C 1DB22D56
	v_mfma_f32_16x16x32_fp8_fp8 v[120:123], a[88:89], a[16:17], v[120:123]// 000000006DE0: D3F30078 1DE22158
	v_mfma_f32_16x16x32_fp8_fp8 v[120:123], a[90:91], a[18:19], v[120:123]// 000000006DE8: D3F30078 1DE2255A
	v_mfma_f32_16x16x32_fp8_fp8 v[120:123], a[92:93], a[20:21], v[120:123]// 000000006DF0: D3F30078 1DE2295C
	v_mfma_f32_16x16x32_fp8_fp8 v[120:123], a[94:95], a[22:23], v[120:123]// 000000006DF8: D3F30078 1DE22D5E
	v_mfma_f32_16x16x32_fp8_fp8 v[132:135], a[96:97], a[16:17], v[132:135]// 000000006E00: D3F30084 1E122160
	v_mfma_f32_16x16x32_fp8_fp8 v[132:135], a[98:99], a[18:19], v[132:135]// 000000006E08: D3F30084 1E122562
	v_mfma_f32_16x16x32_fp8_fp8 v[132:135], a[100:101], a[20:21], v[132:135]// 000000006E10: D3F30084 1E122964
	s_add_u32 s60, 0x180, s80                                  // 000000006E18: 803C50FF 00000180
	s_cmp_lt_u32 s60, s81                                      // 000000006E20: BF0A513C
	s_cselect_b32 s57, s57, 0                                  // 000000006E24: 85398039
	v_mfma_f32_16x16x32_fp8_fp8 v[132:135], a[102:103], a[22:23], v[132:135]// 000000006E28: D3F30084 1E122D66
	s_add_u32 s60, 0x100, s80                                  // 000000006E30: 803C50FF 00000100
	s_cmp_lt_u32 s60, s81                                      // 000000006E38: BF0A513C
	s_cselect_b32 s58, s58, 0                                  // 000000006E3C: 853A803A
	v_mfma_f32_16x16x32_fp8_fp8 v[144:147], a[104:105], a[16:17], v[144:147]// 000000006E40: D3F30090 1E422168
	s_add_u32 s24, s58, s24                                    // 000000006E48: 8018183A
	s_addc_u32 s25, 0, s25                                     // 000000006E4C: 82191980
	v_mfma_f32_16x16x32_fp8_fp8 v[144:147], a[106:107], a[18:19], v[144:147]// 000000006E50: D3F30090 1E42256A
	s_add_u32 s20, s57, s20                                    // 000000006E58: 80141439
	s_addc_u32 s21, 0, s21                                     // 000000006E5C: 82151580
	v_mfma_f32_16x16x32_fp8_fp8 v[144:147], a[108:109], a[20:21], v[144:147]// 000000006E60: D3F30090 1E42296C
	s_add_u32 s84, s83, s84                                    // 000000006E68: 80545453
	s_addc_u32 s85, 0, s85                                     // 000000006E6C: 82555580
	v_mfma_f32_16x16x32_fp8_fp8 v[144:147], a[110:111], a[22:23], v[144:147]// 000000006E70: D3F30090 1E422D6E
	s_addk_i32 s80, 0x80                                       // 000000006E78: B7500080
	s_cmp_lt_i32 s80, s81                                      // 000000006E7C: BF045150
	s_cbranch_scc0 label_1243                                  // 000000006E80: BF84011F
	s_waitcnt vmcnt(6) lgkmcnt(0)                              // 000000006E84: BF8C0076
	s_barrier                                                  // 000000006E88: BF8A0000
	v_mfma_f32_16x16x32_fp8_fp8 v[52:55], a[48:49], a[24:25], v[52:55]// 000000006E8C: D3F30034 1CD23130
	buffer_load_dwordx4 a[80:83], v46, s[84:87], 0 offen       // 000000006E94: E05C1000 8095502E
	v_mfma_f32_16x16x32_fp8_fp8 v[52:55], a[50:51], a[26:27], v[52:55]// 000000006E9C: D3F30034 1CD23532
	v_mfma_f32_16x16x32_fp8_fp8 v[52:55], a[52:53], a[28:29], v[52:55]// 000000006EA4: D3F30034 1CD23934
	v_mfma_f32_16x16x32_fp8_fp8 v[52:55], a[54:55], a[30:31], v[52:55]// 000000006EAC: D3F30034 1CD23D36
	v_mfma_f32_16x16x32_fp8_fp8 v[56:59], a[48:49], a[32:33], v[56:59]// 000000006EB4: D3F30038 1CE24130
	buffer_load_dwordx4 a[84:87], v46, s[84:87], 0 offen offset:1024// 000000006EBC: E05C1400 8095542E
	v_mfma_f32_16x16x32_fp8_fp8 v[56:59], a[50:51], a[34:35], v[56:59]// 000000006EC4: D3F30038 1CE24532
	v_mfma_f32_16x16x32_fp8_fp8 v[56:59], a[52:53], a[36:37], v[56:59]// 000000006ECC: D3F30038 1CE24934
	v_mfma_f32_16x16x32_fp8_fp8 v[56:59], a[54:55], a[38:39], v[56:59]// 000000006ED4: D3F30038 1CE24D36
	v_mfma_f32_16x16x32_fp8_fp8 v[60:63], a[48:49], a[40:41], v[60:63]// 000000006EDC: D3F3003C 1CF25130
	buffer_load_dwordx4 a[88:91], v47, s[84:87], 0 offen       // 000000006EE4: E05C1000 8095582F
	v_mfma_f32_16x16x32_fp8_fp8 v[60:63], a[50:51], a[42:43], v[60:63]// 000000006EEC: D3F3003C 1CF25532
	v_mfma_f32_16x16x32_fp8_fp8 v[60:63], a[52:53], a[44:45], v[60:63]// 000000006EF4: D3F3003C 1CF25934
	v_mfma_f32_16x16x32_fp8_fp8 v[60:63], a[54:55], a[46:47], v[60:63]// 000000006EFC: D3F3003C 1CF25D36
	s_waitcnt vmcnt(7)                                         // 000000006F04: BF8C0F77
	v_mfma_f32_16x16x32_fp8_fp8 v[64:67], a[56:57], a[24:25], v[64:67]// 000000006F08: D3F30040 1D023138
	buffer_load_dwordx4 a[92:95], v47, s[84:87], 0 offen offset:1024// 000000006F10: E05C1400 80955C2F
	v_mfma_f32_16x16x32_fp8_fp8 v[64:67], a[58:59], a[26:27], v[64:67]// 000000006F18: D3F30040 1D02353A
	v_mfma_f32_16x16x32_fp8_fp8 v[64:67], a[60:61], a[28:29], v[64:67]// 000000006F20: D3F30040 1D02393C
	v_mfma_f32_16x16x32_fp8_fp8 v[64:67], a[62:63], a[30:31], v[64:67]// 000000006F28: D3F30040 1D023D3E
	v_mfma_f32_16x16x32_fp8_fp8 v[68:71], a[56:57], a[32:33], v[68:71]// 000000006F30: D3F30044 1D124138
	buffer_load_dwordx4 a[96:99], v48, s[84:87], 0 offen       // 000000006F38: E05C1000 80956030
	v_mfma_f32_16x16x32_fp8_fp8 v[68:71], a[58:59], a[34:35], v[68:71]// 000000006F40: D3F30044 1D12453A
	v_mfma_f32_16x16x32_fp8_fp8 v[68:71], a[60:61], a[36:37], v[68:71]// 000000006F48: D3F30044 1D12493C
	v_mfma_f32_16x16x32_fp8_fp8 v[68:71], a[62:63], a[38:39], v[68:71]// 000000006F50: D3F30044 1D124D3E
	v_mfma_f32_16x16x32_fp8_fp8 v[72:75], a[56:57], a[40:41], v[72:75]// 000000006F58: D3F30048 1D225138
	buffer_load_dwordx4 a[100:103], v48, s[84:87], 0 offen offset:1024// 000000006F60: E05C1400 80956430
	v_mfma_f32_16x16x32_fp8_fp8 v[72:75], a[58:59], a[42:43], v[72:75]// 000000006F68: D3F30048 1D22553A
	v_mfma_f32_16x16x32_fp8_fp8 v[72:75], a[60:61], a[44:45], v[72:75]// 000000006F70: D3F30048 1D22593C
	v_mfma_f32_16x16x32_fp8_fp8 v[72:75], a[62:63], a[46:47], v[72:75]// 000000006F78: D3F30048 1D225D3E
	s_waitcnt vmcnt(8)                                         // 000000006F80: BF8C0F78
	v_mfma_f32_16x16x32_fp8_fp8 v[76:79], a[64:65], a[24:25], v[76:79]// 000000006F84: D3F3004C 1D323140
	buffer_load_dwordx4 a[104:107], v49, s[84:87], 0 offen     // 000000006F8C: E05C1000 80956831
	v_mfma_f32_16x16x32_fp8_fp8 v[76:79], a[66:67], a[26:27], v[76:79]// 000000006F94: D3F3004C 1D323542
	v_mfma_f32_16x16x32_fp8_fp8 v[76:79], a[68:69], a[28:29], v[76:79]// 000000006F9C: D3F3004C 1D323944
	v_mfma_f32_16x16x32_fp8_fp8 v[76:79], a[70:71], a[30:31], v[76:79]// 000000006FA4: D3F3004C 1D323D46
	v_mfma_f32_16x16x32_fp8_fp8 v[80:83], a[64:65], a[32:33], v[80:83]// 000000006FAC: D3F30050 1D424140
	buffer_load_dwordx4 a[108:111], v49, s[84:87], 0 offen offset:1024// 000000006FB4: E05C1400 80956C31
	buffer_load_dword v40, s[20:23], 0 offen lds               // 000000006FBC: E0511000 80050028
	s_add_u32 m0, 0x100, s49                                   // 000000006FC4: 807C31FF 00000100
	v_mfma_f32_16x16x32_fp8_fp8 v[80:83], a[66:67], a[34:35], v[80:83]// 000000006FCC: D3F30050 1D424542
	v_mfma_f32_16x16x32_fp8_fp8 v[80:83], a[68:69], a[36:37], v[80:83]// 000000006FD4: D3F30050 1D424944
	buffer_load_dword v41, s[20:23], 0 offen lds               // 000000006FDC: E0511000 80050029
	s_add_u32 m0, 0x200, s49                                   // 000000006FE4: 807C31FF 00000200
	v_mfma_f32_16x16x32_fp8_fp8 v[80:83], a[70:71], a[38:39], v[80:83]// 000000006FEC: D3F30050 1D424D46
	v_mfma_f32_16x16x32_fp8_fp8 v[84:87], a[64:65], a[40:41], v[84:87]// 000000006FF4: D3F30054 1D525140
	buffer_load_dword v42, s[20:23], 0 offen lds               // 000000006FFC: E0511000 8005002A
	s_add_u32 m0, 0x300, s49                                   // 000000007004: 807C31FF 00000300
	v_mfma_f32_16x16x32_fp8_fp8 v[84:87], a[66:67], a[42:43], v[84:87]// 00000000700C: D3F30054 1D525542
	v_mfma_f32_16x16x32_fp8_fp8 v[84:87], a[68:69], a[44:45], v[84:87]// 000000007014: D3F30054 1D525944
	buffer_load_dword v43, s[20:23], 0 offen lds               // 00000000701C: E0511000 8005002B
	s_add_u32 m0, 0x400, s49                                   // 000000007024: 807C31FF 00000400
	v_mfma_f32_16x16x32_fp8_fp8 v[84:87], a[70:71], a[46:47], v[84:87]// 00000000702C: D3F30054 1D525D46
	s_waitcnt vmcnt(12)                                        // 000000007034: BF8C0F7C
	v_mfma_f32_16x16x32_fp8_fp8 v[88:91], a[72:73], a[24:25], v[88:91]// 000000007038: D3F30058 1D623148
	buffer_load_dword v44, s[20:23], 0 offen lds               // 000000007040: E0511000 8005002C
	s_add_u32 m0, 0x500, s49                                   // 000000007048: 807C31FF 00000500
	v_mfma_f32_16x16x32_fp8_fp8 v[88:91], a[74:75], a[26:27], v[88:91]// 000000007050: D3F30058 1D62354A
	v_mfma_f32_16x16x32_fp8_fp8 v[88:91], a[76:77], a[28:29], v[88:91]// 000000007058: D3F30058 1D62394C
	buffer_load_dword v45, s[20:23], 0 offen lds               // 000000007060: E0511000 8005002D
	s_add_u32 m0, 0, s48                                       // 000000007068: 807C3080
	v_mfma_f32_16x16x32_fp8_fp8 v[88:91], a[78:79], a[30:31], v[88:91]// 00000000706C: D3F30058 1D623D4E
	v_mfma_f32_16x16x32_fp8_fp8 v[92:95], a[72:73], a[32:33], v[92:95]// 000000007074: D3F3005C 1D724148
	v_mfma_f32_16x16x32_fp8_fp8 v[92:95], a[74:75], a[34:35], v[92:95]// 00000000707C: D3F3005C 1D72454A
	v_mfma_f32_16x16x32_fp8_fp8 v[92:95], a[76:77], a[36:37], v[92:95]// 000000007084: D3F3005C 1D72494C
	v_mfma_f32_16x16x32_fp8_fp8 v[92:95], a[78:79], a[38:39], v[92:95]// 00000000708C: D3F3005C 1D724D4E
	v_mfma_f32_16x16x32_fp8_fp8 v[96:99], a[72:73], a[40:41], v[96:99]// 000000007094: D3F30060 1D825148
	v_mfma_f32_16x16x32_fp8_fp8 v[96:99], a[74:75], a[42:43], v[96:99]// 00000000709C: D3F30060 1D82554A
	s_add_u32 s60, 0x80, s80                                   // 0000000070A4: 803C50FF 00000080
	s_cmp_lt_u32 s60, s81                                      // 0000000070AC: BF0A513C
	s_cselect_b32 s83, s83, 0                                  // 0000000070B0: 85538053
	v_mfma_f32_16x16x32_fp8_fp8 v[96:99], a[76:77], a[44:45], v[96:99]// 0000000070B4: D3F30060 1D82594C
	v_mfma_f32_16x16x32_fp8_fp8 v[96:99], a[78:79], a[46:47], v[96:99]// 0000000070BC: D3F30060 1D825D4E
	s_waitcnt vmcnt(6)                                         // 0000000070C4: BF8C0F76
	v_mfma_f32_16x16x32_fp8_fp8 v[100:103], a[80:81], a[24:25], v[100:103]// 0000000070C8: D3F30064 1D923150
	buffer_load_dwordx4 a[48:51], v46, s[24:27], 0 offen       // 0000000070D0: E05C1000 8086302E
	v_mfma_f32_16x16x32_fp8_fp8 v[100:103], a[82:83], a[26:27], v[100:103]// 0000000070D8: D3F30064 1D923552
	v_mfma_f32_16x16x32_fp8_fp8 v[100:103], a[84:85], a[28:29], v[100:103]// 0000000070E0: D3F30064 1D923954
	ds_read_b128 a[0:3], v2                                    // 0000000070E8: DBFE0000 00000002
	ds_read_b128 a[4:7], v2 offset:64                          // 0000000070F0: DBFE0040 04000002
	v_mfma_f32_16x16x32_fp8_fp8 v[100:103], a[86:87], a[30:31], v[100:103]// 0000000070F8: D3F30064 1D923D56
	v_mfma_f32_16x16x32_fp8_fp8 v[112:115], a[88:89], a[24:25], v[112:115]// 000000007100: D3F30070 1DC23158
	buffer_load_dwordx4 a[52:55], v46, s[24:27], 0 offen offset:1024// 000000007108: E05C1400 8086342E
	v_mfma_f32_16x16x32_fp8_fp8 v[112:115], a[90:91], a[26:27], v[112:115]// 000000007110: D3F30070 1DC2355A
	v_mfma_f32_16x16x32_fp8_fp8 v[112:115], a[92:93], a[28:29], v[112:115]// 000000007118: D3F30070 1DC2395C
	ds_read_b128 a[8:11], v2 offset:512                        // 000000007120: DBFE0200 08000002
	ds_read_b128 a[12:15], v2 offset:576                       // 000000007128: DBFE0240 0C000002
	v_mfma_f32_16x16x32_fp8_fp8 v[112:115], a[94:95], a[30:31], v[112:115]// 000000007130: D3F30070 1DC23D5E
	v_mfma_f32_16x16x32_fp8_fp8 v[124:127], a[96:97], a[24:25], v[124:127]// 000000007138: D3F3007C 1DF23160
	buffer_load_dwordx4 a[56:59], v47, s[24:27], 0 offen       // 000000007140: E05C1000 8086382F
	v_mfma_f32_16x16x32_fp8_fp8 v[124:127], a[98:99], a[26:27], v[124:127]// 000000007148: D3F3007C 1DF23562
	v_mfma_f32_16x16x32_fp8_fp8 v[124:127], a[100:101], a[28:29], v[124:127]// 000000007150: D3F3007C 1DF23964
	ds_read_b128 a[16:19], v2 offset:1024                      // 000000007158: DBFE0400 10000002
	ds_read_b128 a[20:23], v2 offset:1088                      // 000000007160: DBFE0440 14000002
	v_mfma_f32_16x16x32_fp8_fp8 v[124:127], a[102:103], a[30:31], v[124:127]// 000000007168: D3F3007C 1DF23D66
	v_mfma_f32_16x16x32_fp8_fp8 v[136:139], a[104:105], a[24:25], v[136:139]// 000000007170: D3F30088 1E223168
	buffer_load_dwordx4 a[60:63], v47, s[24:27], 0 offen offset:1024// 000000007178: E05C1400 80863C2F
	v_mfma_f32_16x16x32_fp8_fp8 v[136:139], a[106:107], a[26:27], v[136:139]// 000000007180: D3F30088 1E22356A
	v_mfma_f32_16x16x32_fp8_fp8 v[136:139], a[108:109], a[28:29], v[136:139]// 000000007188: D3F30088 1E22396C
	v_mfma_f32_16x16x32_fp8_fp8 v[136:139], a[110:111], a[30:31], v[136:139]// 000000007190: D3F30088 1E223D6E
	v_mfma_f32_16x16x32_fp8_fp8 v[104:107], a[80:81], a[32:33], v[104:107]// 000000007198: D3F30068 1DA24150
	buffer_load_dwordx4 a[64:67], v48, s[24:27], 0 offen       // 0000000071A0: E05C1000 80864030
	v_mfma_f32_16x16x32_fp8_fp8 v[104:107], a[82:83], a[34:35], v[104:107]// 0000000071A8: D3F30068 1DA24552
	v_mfma_f32_16x16x32_fp8_fp8 v[104:107], a[84:85], a[36:37], v[104:107]// 0000000071B0: D3F30068 1DA24954
	v_mfma_f32_16x16x32_fp8_fp8 v[104:107], a[86:87], a[38:39], v[104:107]// 0000000071B8: D3F30068 1DA24D56
	v_mfma_f32_16x16x32_fp8_fp8 v[116:119], a[88:89], a[32:33], v[116:119]// 0000000071C0: D3F30074 1DD24158
	buffer_load_dwordx4 a[68:71], v48, s[24:27], 0 offen offset:1024// 0000000071C8: E05C1400 80864430
	v_mfma_f32_16x16x32_fp8_fp8 v[116:119], a[90:91], a[34:35], v[116:119]// 0000000071D0: D3F30074 1DD2455A
	v_mfma_f32_16x16x32_fp8_fp8 v[116:119], a[92:93], a[36:37], v[116:119]// 0000000071D8: D3F30074 1DD2495C
	v_mfma_f32_16x16x32_fp8_fp8 v[116:119], a[94:95], a[38:39], v[116:119]// 0000000071E0: D3F30074 1DD24D5E
	v_mfma_f32_16x16x32_fp8_fp8 v[128:131], a[96:97], a[32:33], v[128:131]// 0000000071E8: D3F30080 1E024160
	buffer_load_dwordx4 a[72:75], v49, s[24:27], 0 offen       // 0000000071F0: E05C1000 80864831
	v_mfma_f32_16x16x32_fp8_fp8 v[128:131], a[98:99], a[34:35], v[128:131]// 0000000071F8: D3F30080 1E024562
	v_mfma_f32_16x16x32_fp8_fp8 v[128:131], a[100:101], a[36:37], v[128:131]// 000000007200: D3F30080 1E024964
	v_mfma_f32_16x16x32_fp8_fp8 v[128:131], a[102:103], a[38:39], v[128:131]// 000000007208: D3F30080 1E024D66
	v_mfma_f32_16x16x32_fp8_fp8 v[140:143], a[104:105], a[32:33], v[140:143]// 000000007210: D3F3008C 1E324168
	buffer_load_dwordx4 a[76:79], v49, s[24:27], 0 offen offset:1024// 000000007218: E05C1400 80864C31
	v_mfma_f32_16x16x32_fp8_fp8 v[140:143], a[106:107], a[34:35], v[140:143]// 000000007220: D3F3008C 1E32456A
	v_mfma_f32_16x16x32_fp8_fp8 v[140:143], a[108:109], a[36:37], v[140:143]// 000000007228: D3F3008C 1E32496C
	v_mfma_f32_16x16x32_fp8_fp8 v[140:143], a[110:111], a[38:39], v[140:143]// 000000007230: D3F3008C 1E324D6E
	v_mfma_f32_16x16x32_fp8_fp8 v[108:111], a[80:81], a[40:41], v[108:111]// 000000007238: D3F3006C 1DB25150
	v_mfma_f32_16x16x32_fp8_fp8 v[108:111], a[82:83], a[42:43], v[108:111]// 000000007240: D3F3006C 1DB25552
	v_mfma_f32_16x16x32_fp8_fp8 v[108:111], a[84:85], a[44:45], v[108:111]// 000000007248: D3F3006C 1DB25954
	v_mfma_f32_16x16x32_fp8_fp8 v[108:111], a[86:87], a[46:47], v[108:111]// 000000007250: D3F3006C 1DB25D56
	v_mfma_f32_16x16x32_fp8_fp8 v[120:123], a[88:89], a[40:41], v[120:123]// 000000007258: D3F30078 1DE25158
	v_mfma_f32_16x16x32_fp8_fp8 v[120:123], a[90:91], a[42:43], v[120:123]// 000000007260: D3F30078 1DE2555A
	v_mfma_f32_16x16x32_fp8_fp8 v[120:123], a[92:93], a[44:45], v[120:123]// 000000007268: D3F30078 1DE2595C
	v_mfma_f32_16x16x32_fp8_fp8 v[120:123], a[94:95], a[46:47], v[120:123]// 000000007270: D3F30078 1DE25D5E
	v_mfma_f32_16x16x32_fp8_fp8 v[132:135], a[96:97], a[40:41], v[132:135]// 000000007278: D3F30084 1E125160
	v_mfma_f32_16x16x32_fp8_fp8 v[132:135], a[98:99], a[42:43], v[132:135]// 000000007280: D3F30084 1E125562
	v_mfma_f32_16x16x32_fp8_fp8 v[132:135], a[100:101], a[44:45], v[132:135]// 000000007288: D3F30084 1E125964
	s_add_u32 s60, 0x180, s80                                  // 000000007290: 803C50FF 00000180
	s_cmp_lt_u32 s60, s81                                      // 000000007298: BF0A513C
	s_cselect_b32 s57, s57, 0                                  // 00000000729C: 85398039
	v_mfma_f32_16x16x32_fp8_fp8 v[132:135], a[102:103], a[46:47], v[132:135]// 0000000072A0: D3F30084 1E125D66
	s_add_u32 s60, 0x100, s80                                  // 0000000072A8: 803C50FF 00000100
	s_cmp_lt_u32 s60, s81                                      // 0000000072B0: BF0A513C
	s_cselect_b32 s58, s58, 0                                  // 0000000072B4: 853A803A
	v_mfma_f32_16x16x32_fp8_fp8 v[144:147], a[104:105], a[40:41], v[144:147]// 0000000072B8: D3F30090 1E425168
	s_add_u32 s24, s58, s24                                    // 0000000072C0: 8018183A
	s_addc_u32 s25, 0, s25                                     // 0000000072C4: 82191980
	v_mfma_f32_16x16x32_fp8_fp8 v[144:147], a[106:107], a[42:43], v[144:147]// 0000000072C8: D3F30090 1E42556A
	s_add_u32 s20, s57, s20                                    // 0000000072D0: 80141439
	s_addc_u32 s21, 0, s21                                     // 0000000072D4: 82151580
	v_mfma_f32_16x16x32_fp8_fp8 v[144:147], a[108:109], a[44:45], v[144:147]// 0000000072D8: D3F30090 1E42596C
	s_add_u32 s84, s83, s84                                    // 0000000072E0: 80545453
	s_addc_u32 s85, 0, s85                                     // 0000000072E4: 82555580
	v_mfma_f32_16x16x32_fp8_fp8 v[144:147], a[110:111], a[46:47], v[144:147]// 0000000072E8: D3F30090 1E425D6E
	s_addk_i32 s80, 0x80                                       // 0000000072F0: B7500080
	s_cmp_lt_i32 s80, s81                                      // 0000000072F4: BF045150
	s_cbranch_scc0 label_1243                                  // 0000000072F8: BF840001
	s_branch label_1006                                        // 0000000072FC: BF82FDC3

0000000000007300 <label_1243>:
	v_mul_f32_dpp v52, v24, v52 row_newbcast:0 row_mask:0xf bank_mask:0xf// 000000007300: 0A6868FA FF015018
	v_mul_f32_dpp v53, v24, v53 row_newbcast:1 row_mask:0xf bank_mask:0xf// 000000007308: 0A6A6AFA FF015118
	v_mul_f32_dpp v54, v24, v54 row_newbcast:2 row_mask:0xf bank_mask:0xf// 000000007310: 0A6C6CFA FF015218
	v_mul_f32_dpp v55, v24, v55 row_newbcast:3 row_mask:0xf bank_mask:0xf// 000000007318: 0A6E6EFA FF015318
	v_mul_f32_dpp v56, v24, v56 row_newbcast:0 row_mask:0xf bank_mask:0xf// 000000007320: 0A7070FA FF015018
	v_mul_f32_dpp v57, v24, v57 row_newbcast:1 row_mask:0xf bank_mask:0xf// 000000007328: 0A7272FA FF015118
	v_mul_f32_dpp v58, v24, v58 row_newbcast:2 row_mask:0xf bank_mask:0xf// 000000007330: 0A7474FA FF015218
	v_mul_f32_dpp v59, v24, v59 row_newbcast:3 row_mask:0xf bank_mask:0xf// 000000007338: 0A7676FA FF015318
	v_mul_f32_dpp v60, v24, v60 row_newbcast:0 row_mask:0xf bank_mask:0xf// 000000007340: 0A7878FA FF015018
	v_mul_f32_dpp v61, v24, v61 row_newbcast:1 row_mask:0xf bank_mask:0xf// 000000007348: 0A7A7AFA FF015118
	v_mul_f32_dpp v62, v24, v62 row_newbcast:2 row_mask:0xf bank_mask:0xf// 000000007350: 0A7C7CFA FF015218
	v_mul_f32_dpp v63, v24, v63 row_newbcast:3 row_mask:0xf bank_mask:0xf// 000000007358: 0A7E7EFA FF015318
	v_mul_f32_dpp v64, v24, v64 row_newbcast:4 row_mask:0xf bank_mask:0xf// 000000007360: 0A8080FA FF015418
	v_mul_f32_dpp v65, v24, v65 row_newbcast:5 row_mask:0xf bank_mask:0xf// 000000007368: 0A8282FA FF015518
	v_mul_f32_dpp v66, v24, v66 row_newbcast:6 row_mask:0xf bank_mask:0xf// 000000007370: 0A8484FA FF015618
	v_mul_f32_dpp v67, v24, v67 row_newbcast:7 row_mask:0xf bank_mask:0xf// 000000007378: 0A8686FA FF015718
	v_mul_f32_dpp v68, v24, v68 row_newbcast:4 row_mask:0xf bank_mask:0xf// 000000007380: 0A8888FA FF015418
	v_mul_f32_dpp v69, v24, v69 row_newbcast:5 row_mask:0xf bank_mask:0xf// 000000007388: 0A8A8AFA FF015518
	v_mul_f32_dpp v70, v24, v70 row_newbcast:6 row_mask:0xf bank_mask:0xf// 000000007390: 0A8C8CFA FF015618
	v_mul_f32_dpp v71, v24, v71 row_newbcast:7 row_mask:0xf bank_mask:0xf// 000000007398: 0A8E8EFA FF015718
	v_mul_f32_dpp v72, v24, v72 row_newbcast:4 row_mask:0xf bank_mask:0xf// 0000000073A0: 0A9090FA FF015418
	v_mul_f32_dpp v73, v24, v73 row_newbcast:5 row_mask:0xf bank_mask:0xf// 0000000073A8: 0A9292FA FF015518
	v_mul_f32_dpp v74, v24, v74 row_newbcast:6 row_mask:0xf bank_mask:0xf// 0000000073B0: 0A9494FA FF015618
	v_mul_f32_dpp v75, v24, v75 row_newbcast:7 row_mask:0xf bank_mask:0xf// 0000000073B8: 0A9696FA FF015718
	v_mul_f32_dpp v76, v24, v76 row_newbcast:8 row_mask:0xf bank_mask:0xf// 0000000073C0: 0A9898FA FF015818
	v_mul_f32_dpp v77, v24, v77 row_newbcast:9 row_mask:0xf bank_mask:0xf// 0000000073C8: 0A9A9AFA FF015918
	v_mul_f32_dpp v78, v24, v78 row_newbcast:10 row_mask:0xf bank_mask:0xf// 0000000073D0: 0A9C9CFA FF015A18
	v_mul_f32_dpp v79, v24, v79 row_newbcast:11 row_mask:0xf bank_mask:0xf// 0000000073D8: 0A9E9EFA FF015B18
	v_mul_f32_dpp v80, v24, v80 row_newbcast:8 row_mask:0xf bank_mask:0xf// 0000000073E0: 0AA0A0FA FF015818
	v_mul_f32_dpp v81, v24, v81 row_newbcast:9 row_mask:0xf bank_mask:0xf// 0000000073E8: 0AA2A2FA FF015918
	v_mul_f32_dpp v82, v24, v82 row_newbcast:10 row_mask:0xf bank_mask:0xf// 0000000073F0: 0AA4A4FA FF015A18
	v_mul_f32_dpp v83, v24, v83 row_newbcast:11 row_mask:0xf bank_mask:0xf// 0000000073F8: 0AA6A6FA FF015B18
	v_mul_f32_dpp v84, v24, v84 row_newbcast:8 row_mask:0xf bank_mask:0xf// 000000007400: 0AA8A8FA FF015818
	v_mul_f32_dpp v85, v24, v85 row_newbcast:9 row_mask:0xf bank_mask:0xf// 000000007408: 0AAAAAFA FF015918
	v_mul_f32_dpp v86, v24, v86 row_newbcast:10 row_mask:0xf bank_mask:0xf// 000000007410: 0AACACFA FF015A18
	v_mul_f32_dpp v87, v24, v87 row_newbcast:11 row_mask:0xf bank_mask:0xf// 000000007418: 0AAEAEFA FF015B18
	v_mul_f32_dpp v88, v24, v88 row_newbcast:12 row_mask:0xf bank_mask:0xf// 000000007420: 0AB0B0FA FF015C18
	v_mul_f32_dpp v89, v24, v89 row_newbcast:13 row_mask:0xf bank_mask:0xf// 000000007428: 0AB2B2FA FF015D18
	v_mul_f32_dpp v90, v24, v90 row_newbcast:14 row_mask:0xf bank_mask:0xf// 000000007430: 0AB4B4FA FF015E18
	v_mul_f32_dpp v91, v24, v91 row_newbcast:15 row_mask:0xf bank_mask:0xf// 000000007438: 0AB6B6FA FF015F18
	v_mul_f32_dpp v92, v24, v92 row_newbcast:12 row_mask:0xf bank_mask:0xf// 000000007440: 0AB8B8FA FF015C18
	v_mul_f32_dpp v93, v24, v93 row_newbcast:13 row_mask:0xf bank_mask:0xf// 000000007448: 0ABABAFA FF015D18
	v_mul_f32_dpp v94, v24, v94 row_newbcast:14 row_mask:0xf bank_mask:0xf// 000000007450: 0ABCBCFA FF015E18
	v_mul_f32_dpp v95, v24, v95 row_newbcast:15 row_mask:0xf bank_mask:0xf// 000000007458: 0ABEBEFA FF015F18
	v_mul_f32_dpp v96, v24, v96 row_newbcast:12 row_mask:0xf bank_mask:0xf// 000000007460: 0AC0C0FA FF015C18
	v_mul_f32_dpp v97, v24, v97 row_newbcast:13 row_mask:0xf bank_mask:0xf// 000000007468: 0AC2C2FA FF015D18
	v_mul_f32_dpp v98, v24, v98 row_newbcast:14 row_mask:0xf bank_mask:0xf// 000000007470: 0AC4C4FA FF015E18
	v_mul_f32_dpp v99, v24, v99 row_newbcast:15 row_mask:0xf bank_mask:0xf// 000000007478: 0AC6C6FA FF015F18
	v_mul_f32_dpp v100, v26, v100 row_newbcast:0 row_mask:0xf bank_mask:0xf// 000000007480: 0AC8C8FA FF01501A
	v_mul_f32_dpp v101, v26, v101 row_newbcast:1 row_mask:0xf bank_mask:0xf// 000000007488: 0ACACAFA FF01511A
	v_mul_f32_dpp v102, v26, v102 row_newbcast:2 row_mask:0xf bank_mask:0xf// 000000007490: 0ACCCCFA FF01521A
	v_mul_f32_dpp v103, v26, v103 row_newbcast:3 row_mask:0xf bank_mask:0xf// 000000007498: 0ACECEFA FF01531A
	v_mul_f32_dpp v104, v26, v104 row_newbcast:0 row_mask:0xf bank_mask:0xf// 0000000074A0: 0AD0D0FA FF01501A
	v_mul_f32_dpp v105, v26, v105 row_newbcast:1 row_mask:0xf bank_mask:0xf// 0000000074A8: 0AD2D2FA FF01511A
	v_mul_f32_dpp v106, v26, v106 row_newbcast:2 row_mask:0xf bank_mask:0xf// 0000000074B0: 0AD4D4FA FF01521A
	v_mul_f32_dpp v107, v26, v107 row_newbcast:3 row_mask:0xf bank_mask:0xf// 0000000074B8: 0AD6D6FA FF01531A
	v_mul_f32_dpp v108, v26, v108 row_newbcast:0 row_mask:0xf bank_mask:0xf// 0000000074C0: 0AD8D8FA FF01501A
	v_mul_f32_dpp v109, v26, v109 row_newbcast:1 row_mask:0xf bank_mask:0xf// 0000000074C8: 0ADADAFA FF01511A
	v_mul_f32_dpp v110, v26, v110 row_newbcast:2 row_mask:0xf bank_mask:0xf// 0000000074D0: 0ADCDCFA FF01521A
	v_mul_f32_dpp v111, v26, v111 row_newbcast:3 row_mask:0xf bank_mask:0xf// 0000000074D8: 0ADEDEFA FF01531A
	v_mul_f32_dpp v112, v26, v112 row_newbcast:4 row_mask:0xf bank_mask:0xf// 0000000074E0: 0AE0E0FA FF01541A
	v_mul_f32_dpp v113, v26, v113 row_newbcast:5 row_mask:0xf bank_mask:0xf// 0000000074E8: 0AE2E2FA FF01551A
	v_mul_f32_dpp v114, v26, v114 row_newbcast:6 row_mask:0xf bank_mask:0xf// 0000000074F0: 0AE4E4FA FF01561A
	v_mul_f32_dpp v115, v26, v115 row_newbcast:7 row_mask:0xf bank_mask:0xf// 0000000074F8: 0AE6E6FA FF01571A
	v_mul_f32_dpp v116, v26, v116 row_newbcast:4 row_mask:0xf bank_mask:0xf// 000000007500: 0AE8E8FA FF01541A
	v_mul_f32_dpp v117, v26, v117 row_newbcast:5 row_mask:0xf bank_mask:0xf// 000000007508: 0AEAEAFA FF01551A
	v_mul_f32_dpp v118, v26, v118 row_newbcast:6 row_mask:0xf bank_mask:0xf// 000000007510: 0AECECFA FF01561A
	v_mul_f32_dpp v119, v26, v119 row_newbcast:7 row_mask:0xf bank_mask:0xf// 000000007518: 0AEEEEFA FF01571A
	v_mul_f32_dpp v120, v26, v120 row_newbcast:4 row_mask:0xf bank_mask:0xf// 000000007520: 0AF0F0FA FF01541A
	v_mul_f32_dpp v121, v26, v121 row_newbcast:5 row_mask:0xf bank_mask:0xf// 000000007528: 0AF2F2FA FF01551A
	v_mul_f32_dpp v122, v26, v122 row_newbcast:6 row_mask:0xf bank_mask:0xf// 000000007530: 0AF4F4FA FF01561A
	v_mul_f32_dpp v123, v26, v123 row_newbcast:7 row_mask:0xf bank_mask:0xf// 000000007538: 0AF6F6FA FF01571A
	v_mul_f32_dpp v124, v26, v124 row_newbcast:8 row_mask:0xf bank_mask:0xf// 000000007540: 0AF8F8FA FF01581A
	v_mul_f32_dpp v125, v26, v125 row_newbcast:9 row_mask:0xf bank_mask:0xf// 000000007548: 0AFAFAFA FF01591A
	v_mul_f32_dpp v126, v26, v126 row_newbcast:10 row_mask:0xf bank_mask:0xf// 000000007550: 0AFCFCFA FF015A1A
	v_mul_f32_dpp v127, v26, v127 row_newbcast:11 row_mask:0xf bank_mask:0xf// 000000007558: 0AFEFEFA FF015B1A
	v_mul_f32_dpp v128, v26, v128 row_newbcast:8 row_mask:0xf bank_mask:0xf// 000000007560: 0B0100FA FF01581A
	v_mul_f32_dpp v129, v26, v129 row_newbcast:9 row_mask:0xf bank_mask:0xf// 000000007568: 0B0302FA FF01591A
	v_mul_f32_dpp v130, v26, v130 row_newbcast:10 row_mask:0xf bank_mask:0xf// 000000007570: 0B0504FA FF015A1A
	v_mul_f32_dpp v131, v26, v131 row_newbcast:11 row_mask:0xf bank_mask:0xf// 000000007578: 0B0706FA FF015B1A
	v_mul_f32_dpp v132, v26, v132 row_newbcast:8 row_mask:0xf bank_mask:0xf// 000000007580: 0B0908FA FF01581A
	v_mul_f32_dpp v133, v26, v133 row_newbcast:9 row_mask:0xf bank_mask:0xf// 000000007588: 0B0B0AFA FF01591A
	v_mul_f32_dpp v134, v26, v134 row_newbcast:10 row_mask:0xf bank_mask:0xf// 000000007590: 0B0D0CFA FF015A1A
	v_mul_f32_dpp v135, v26, v135 row_newbcast:11 row_mask:0xf bank_mask:0xf// 000000007598: 0B0F0EFA FF015B1A
	v_mul_f32_dpp v136, v26, v136 row_newbcast:12 row_mask:0xf bank_mask:0xf// 0000000075A0: 0B1110FA FF015C1A
	v_mul_f32_dpp v137, v26, v137 row_newbcast:13 row_mask:0xf bank_mask:0xf// 0000000075A8: 0B1312FA FF015D1A
	v_mul_f32_dpp v138, v26, v138 row_newbcast:14 row_mask:0xf bank_mask:0xf// 0000000075B0: 0B1514FA FF015E1A
	v_mul_f32_dpp v139, v26, v139 row_newbcast:15 row_mask:0xf bank_mask:0xf// 0000000075B8: 0B1716FA FF015F1A
	v_mul_f32_dpp v140, v26, v140 row_newbcast:12 row_mask:0xf bank_mask:0xf// 0000000075C0: 0B1918FA FF015C1A
	v_mul_f32_dpp v141, v26, v141 row_newbcast:13 row_mask:0xf bank_mask:0xf// 0000000075C8: 0B1B1AFA FF015D1A
	v_mul_f32_dpp v142, v26, v142 row_newbcast:14 row_mask:0xf bank_mask:0xf// 0000000075D0: 0B1D1CFA FF015E1A
	v_mul_f32_dpp v143, v26, v143 row_newbcast:15 row_mask:0xf bank_mask:0xf// 0000000075D8: 0B1F1EFA FF015F1A
	v_mul_f32_dpp v144, v26, v144 row_newbcast:12 row_mask:0xf bank_mask:0xf// 0000000075E0: 0B2120FA FF015C1A
	v_mul_f32_dpp v145, v26, v145 row_newbcast:13 row_mask:0xf bank_mask:0xf// 0000000075E8: 0B2322FA FF015D1A
	v_mul_f32_dpp v146, v26, v146 row_newbcast:14 row_mask:0xf bank_mask:0xf// 0000000075F0: 0B2524FA FF015E1A
	v_mul_f32_dpp v147, v26, v147 row_newbcast:15 row_mask:0xf bank_mask:0xf// 0000000075F8: 0B2726FA FF015F1A
	v_mul_f32_e32 v31, v31, v148                               // 000000007600: 0A3F291F
	v_mov_b32_e32 v4, v31                                      // 000000007604: 7E08031F
	v_mov_b32_e32 v5, v4                                       // 000000007608: 7E0A0304
	v_pk_mul_f32 v[52:53], v[4:5], v[52:53]                    // 00000000760C: D3B14034 18026904
	v_pk_mul_f32 v[100:101], v[4:5], v[100:101]                // 000000007614: D3B14064 1802C904
	v_pk_mul_f32 v[54:55], v[4:5], v[54:55]                    // 00000000761C: D3B14036 18026D04
	v_pk_mul_f32 v[102:103], v[4:5], v[102:103]                // 000000007624: D3B14066 1802CD04
	v_pk_mul_f32 v[64:65], v[4:5], v[64:65]                    // 00000000762C: D3B14040 18028104
	v_pk_mul_f32 v[112:113], v[4:5], v[112:113]                // 000000007634: D3B14070 1802E104
	v_pk_mul_f32 v[66:67], v[4:5], v[66:67]                    // 00000000763C: D3B14042 18028504
	v_pk_mul_f32 v[114:115], v[4:5], v[114:115]                // 000000007644: D3B14072 1802E504
	v_pk_mul_f32 v[76:77], v[4:5], v[76:77]                    // 00000000764C: D3B1404C 18029904
	v_pk_mul_f32 v[124:125], v[4:5], v[124:125]                // 000000007654: D3B1407C 1802F904
	v_pk_mul_f32 v[78:79], v[4:5], v[78:79]                    // 00000000765C: D3B1404E 18029D04
	v_pk_mul_f32 v[126:127], v[4:5], v[126:127]                // 000000007664: D3B1407E 1802FD04
	v_pk_mul_f32 v[88:89], v[4:5], v[88:89]                    // 00000000766C: D3B14058 1802B104
	v_pk_mul_f32 v[136:137], v[4:5], v[136:137]                // 000000007674: D3B14088 18031104
	v_pk_mul_f32 v[90:91], v[4:5], v[90:91]                    // 00000000767C: D3B1405A 1802B504
	v_pk_mul_f32 v[138:139], v[4:5], v[138:139]                // 000000007684: D3B1408A 18031504
	v_mul_f32_e32 v32, v32, v149                               // 00000000768C: 0A412B20
	v_mov_b32_e32 v4, v32                                      // 000000007690: 7E080320
	v_mov_b32_e32 v5, v4                                       // 000000007694: 7E0A0304
	v_pk_mul_f32 v[56:57], v[4:5], v[56:57]                    // 000000007698: D3B14038 18027104
	v_pk_mul_f32 v[104:105], v[4:5], v[104:105]                // 0000000076A0: D3B14068 1802D104
	v_pk_mul_f32 v[58:59], v[4:5], v[58:59]                    // 0000000076A8: D3B1403A 18027504
	v_pk_mul_f32 v[106:107], v[4:5], v[106:107]                // 0000000076B0: D3B1406A 1802D504
	v_pk_mul_f32 v[68:69], v[4:5], v[68:69]                    // 0000000076B8: D3B14044 18028904
	v_pk_mul_f32 v[116:117], v[4:5], v[116:117]                // 0000000076C0: D3B14074 1802E904
	v_pk_mul_f32 v[70:71], v[4:5], v[70:71]                    // 0000000076C8: D3B14046 18028D04
	v_pk_mul_f32 v[118:119], v[4:5], v[118:119]                // 0000000076D0: D3B14076 1802ED04
	v_pk_mul_f32 v[80:81], v[4:5], v[80:81]                    // 0000000076D8: D3B14050 1802A104
	v_pk_mul_f32 v[128:129], v[4:5], v[128:129]                // 0000000076E0: D3B14080 18030104
	v_pk_mul_f32 v[82:83], v[4:5], v[82:83]                    // 0000000076E8: D3B14052 1802A504
	v_pk_mul_f32 v[130:131], v[4:5], v[130:131]                // 0000000076F0: D3B14082 18030504
	v_pk_mul_f32 v[92:93], v[4:5], v[92:93]                    // 0000000076F8: D3B1405C 1802B904
	v_pk_mul_f32 v[140:141], v[4:5], v[140:141]                // 000000007700: D3B1408C 18031904
	v_pk_mul_f32 v[94:95], v[4:5], v[94:95]                    // 000000007708: D3B1405E 1802BD04
	v_pk_mul_f32 v[142:143], v[4:5], v[142:143]                // 000000007710: D3B1408E 18031D04
	v_mul_f32_e32 v33, v33, v150                               // 000000007718: 0A432D21
	v_mov_b32_e32 v4, v33                                      // 00000000771C: 7E080321
	v_mov_b32_e32 v5, v4                                       // 000000007720: 7E0A0304
	v_pk_mul_f32 v[60:61], v[4:5], v[60:61]                    // 000000007724: D3B1403C 18027904
	v_pk_mul_f32 v[108:109], v[4:5], v[108:109]                // 00000000772C: D3B1406C 1802D904
	v_pk_mul_f32 v[62:63], v[4:5], v[62:63]                    // 000000007734: D3B1403E 18027D04
	v_pk_mul_f32 v[110:111], v[4:5], v[110:111]                // 00000000773C: D3B1406E 1802DD04
	v_pk_mul_f32 v[72:73], v[4:5], v[72:73]                    // 000000007744: D3B14048 18029104
	v_pk_mul_f32 v[120:121], v[4:5], v[120:121]                // 00000000774C: D3B14078 1802F104
	v_pk_mul_f32 v[74:75], v[4:5], v[74:75]                    // 000000007754: D3B1404A 18029504
	v_pk_mul_f32 v[122:123], v[4:5], v[122:123]                // 00000000775C: D3B1407A 1802F504
	v_pk_mul_f32 v[84:85], v[4:5], v[84:85]                    // 000000007764: D3B14054 1802A904
	v_pk_mul_f32 v[132:133], v[4:5], v[132:133]                // 00000000776C: D3B14084 18030904
	v_pk_mul_f32 v[86:87], v[4:5], v[86:87]                    // 000000007774: D3B14056 1802AD04
	v_pk_mul_f32 v[134:135], v[4:5], v[134:135]                // 00000000777C: D3B14086 18030D04
	v_pk_mul_f32 v[96:97], v[4:5], v[96:97]                    // 000000007784: D3B14060 1802C104
	v_pk_mul_f32 v[144:145], v[4:5], v[144:145]                // 00000000778C: D3B14090 18032104
	v_pk_mul_f32 v[98:99], v[4:5], v[98:99]                    // 000000007794: D3B14062 1802C504
	v_pk_mul_f32 v[146:147], v[4:5], v[146:147]                // 00000000779C: D3B14092 18032504
	s_cmp_eq_u32 s88, 0                                        // 0000000077A4: BF068058
	s_cbranch_scc0 label_199B                                  // 0000000077A8: BF84062D
	s_cmp_eq_u32 s89, 0                                        // 0000000077AC: BF068059
	s_cbranch_scc1 label_1555                                  // 0000000077B0: BF8501E5
	v_mov_b32_e32 v8, v1                                       // 0000000077B4: 7E100301
	v_mov_b32_e32 v9, v1                                       // 0000000077B8: 7E120301
	s_mov_b32 s60, s6                                          // 0000000077BC: BEBC0006
	s_mov_b32 s61, s6                                          // 0000000077C0: BEBD0006
	v_pk_mul_f32 v[4:5], v[52:53], v[52:53]                    // 0000000077C4: D3B14004 18026934
	v_pk_mul_f32 v[6:7], v[54:55], v[54:55]                    // 0000000077CC: D3B14006 18026D36
	v_pk_fma_f32 v[4:5], v[4:5], s[78:79], v[8:9]              // 0000000077D4: D3B04004 1C209D04
	v_pk_fma_f32 v[6:7], v[6:7], s[78:79], v[8:9]              // 0000000077DC: D3B04006 1C209D06
	v_pk_mul_f32 v[4:5], v[4:5], v[52:53]                      // 0000000077E4: D3B14004 18026904
	v_pk_mul_f32 v[6:7], v[6:7], v[54:55]                      // 0000000077EC: D3B14006 18026D06
	v_pk_mul_f32 v[4:5], v[4:5], s[60:61]                      // 0000000077F4: D3B14004 18007904
	v_pk_mul_f32 v[6:7], v[6:7], s[60:61]                      // 0000000077FC: D3B14006 18007906
	v_exp_f32_e32 v4, v4                                       // 000000007804: 7E084104
	v_exp_f32_e32 v5, v5                                       // 000000007808: 7E0A4105
	v_exp_f32_e32 v6, v6                                       // 00000000780C: 7E0C4106
	v_exp_f32_e32 v7, v7                                       // 000000007810: 7E0E4107
	v_add_f32_e64 v4, v4, 1.0                                  // 000000007814: D1010004 0001E504
	v_add_f32_e64 v5, v5, 1.0                                  // 00000000781C: D1010005 0001E505
	v_add_f32_e64 v6, v6, 1.0                                  // 000000007824: D1010006 0001E506
	v_add_f32_e64 v7, v7, 1.0                                  // 00000000782C: D1010007 0001E507
	v_rcp_f32_e32 v4, v4                                       // 000000007834: 7E084504
	v_rcp_f32_e32 v5, v5                                       // 000000007838: 7E0A4505
	v_rcp_f32_e32 v6, v6                                       // 00000000783C: 7E0C4506
	v_rcp_f32_e32 v7, v7                                       // 000000007840: 7E0E4507
	v_mul_f32_e32 v52, v52, v4                                 // 000000007844: 0A680934
	v_mul_f32_e32 v53, v53, v5                                 // 000000007848: 0A6A0B35
	v_mul_f32_e32 v54, v54, v6                                 // 00000000784C: 0A6C0D36
	v_mul_f32_e32 v55, v55, v7                                 // 000000007850: 0A6E0F37
	v_mul_f32_e32 v52, v52, v100                               // 000000007854: 0A68C934
	v_mul_f32_e32 v53, v53, v101                               // 000000007858: 0A6ACB35
	v_mul_f32_e32 v54, v54, v102                               // 00000000785C: 0A6CCD36
	v_mul_f32_e32 v55, v55, v103                               // 000000007860: 0A6ECF37
	v_pk_mul_f32 v[4:5], v[56:57], v[56:57]                    // 000000007864: D3B14004 18027138
	v_pk_mul_f32 v[6:7], v[58:59], v[58:59]                    // 00000000786C: D3B14006 1802753A
	v_pk_fma_f32 v[4:5], v[4:5], s[78:79], v[8:9]              // 000000007874: D3B04004 1C209D04
	v_pk_fma_f32 v[6:7], v[6:7], s[78:79], v[8:9]              // 00000000787C: D3B04006 1C209D06
	v_pk_mul_f32 v[4:5], v[4:5], v[56:57]                      // 000000007884: D3B14004 18027104
	v_pk_mul_f32 v[6:7], v[6:7], v[58:59]                      // 00000000788C: D3B14006 18027506
	v_pk_mul_f32 v[4:5], v[4:5], s[60:61]                      // 000000007894: D3B14004 18007904
	v_pk_mul_f32 v[6:7], v[6:7], s[60:61]                      // 00000000789C: D3B14006 18007906
	v_exp_f32_e32 v4, v4                                       // 0000000078A4: 7E084104
	v_exp_f32_e32 v5, v5                                       // 0000000078A8: 7E0A4105
	v_exp_f32_e32 v6, v6                                       // 0000000078AC: 7E0C4106
	v_exp_f32_e32 v7, v7                                       // 0000000078B0: 7E0E4107
	v_add_f32_e64 v4, v4, 1.0                                  // 0000000078B4: D1010004 0001E504
	v_add_f32_e64 v5, v5, 1.0                                  // 0000000078BC: D1010005 0001E505
	v_add_f32_e64 v6, v6, 1.0                                  // 0000000078C4: D1010006 0001E506
	v_add_f32_e64 v7, v7, 1.0                                  // 0000000078CC: D1010007 0001E507
	v_rcp_f32_e32 v4, v4                                       // 0000000078D4: 7E084504
	v_rcp_f32_e32 v5, v5                                       // 0000000078D8: 7E0A4505
	v_rcp_f32_e32 v6, v6                                       // 0000000078DC: 7E0C4506
	v_rcp_f32_e32 v7, v7                                       // 0000000078E0: 7E0E4507
	v_mul_f32_e32 v56, v56, v4                                 // 0000000078E4: 0A700938
	v_mul_f32_e32 v57, v57, v5                                 // 0000000078E8: 0A720B39
	v_mul_f32_e32 v58, v58, v6                                 // 0000000078EC: 0A740D3A
	v_mul_f32_e32 v59, v59, v7                                 // 0000000078F0: 0A760F3B
	v_mul_f32_e32 v56, v56, v104                               // 0000000078F4: 0A70D138
	v_mul_f32_e32 v57, v57, v105                               // 0000000078F8: 0A72D339
	v_mul_f32_e32 v58, v58, v106                               // 0000000078FC: 0A74D53A
	v_mul_f32_e32 v59, v59, v107                               // 000000007900: 0A76D73B
	v_pk_mul_f32 v[4:5], v[60:61], v[60:61]                    // 000000007904: D3B14004 1802793C
	v_pk_mul_f32 v[6:7], v[62:63], v[62:63]                    // 00000000790C: D3B14006 18027D3E
	v_pk_fma_f32 v[4:5], v[4:5], s[78:79], v[8:9]              // 000000007914: D3B04004 1C209D04
	v_pk_fma_f32 v[6:7], v[6:7], s[78:79], v[8:9]              // 00000000791C: D3B04006 1C209D06
	v_pk_mul_f32 v[4:5], v[4:5], v[60:61]                      // 000000007924: D3B14004 18027904
	v_pk_mul_f32 v[6:7], v[6:7], v[62:63]                      // 00000000792C: D3B14006 18027D06
	v_pk_mul_f32 v[4:5], v[4:5], s[60:61]                      // 000000007934: D3B14004 18007904
	v_pk_mul_f32 v[6:7], v[6:7], s[60:61]                      // 00000000793C: D3B14006 18007906
	v_exp_f32_e32 v4, v4                                       // 000000007944: 7E084104
	v_exp_f32_e32 v5, v5                                       // 000000007948: 7E0A4105
	v_exp_f32_e32 v6, v6                                       // 00000000794C: 7E0C4106
	v_exp_f32_e32 v7, v7                                       // 000000007950: 7E0E4107
	v_add_f32_e64 v4, v4, 1.0                                  // 000000007954: D1010004 0001E504
	v_add_f32_e64 v5, v5, 1.0                                  // 00000000795C: D1010005 0001E505
	v_add_f32_e64 v6, v6, 1.0                                  // 000000007964: D1010006 0001E506
	v_add_f32_e64 v7, v7, 1.0                                  // 00000000796C: D1010007 0001E507
	v_rcp_f32_e32 v4, v4                                       // 000000007974: 7E084504
	v_rcp_f32_e32 v5, v5                                       // 000000007978: 7E0A4505
	v_rcp_f32_e32 v6, v6                                       // 00000000797C: 7E0C4506
	v_rcp_f32_e32 v7, v7                                       // 000000007980: 7E0E4507
	v_mul_f32_e32 v60, v60, v4                                 // 000000007984: 0A78093C
	v_mul_f32_e32 v61, v61, v5                                 // 000000007988: 0A7A0B3D
	v_mul_f32_e32 v62, v62, v6                                 // 00000000798C: 0A7C0D3E
	v_mul_f32_e32 v63, v63, v7                                 // 000000007990: 0A7E0F3F
	v_mul_f32_e32 v60, v60, v108                               // 000000007994: 0A78D93C
	v_mul_f32_e32 v61, v61, v109                               // 000000007998: 0A7ADB3D
	v_mul_f32_e32 v62, v62, v110                               // 00000000799C: 0A7CDD3E
	v_mul_f32_e32 v63, v63, v111                               // 0000000079A0: 0A7EDF3F
	v_pk_mul_f32 v[4:5], v[64:65], v[64:65]                    // 0000000079A4: D3B14004 18028140
	v_pk_mul_f32 v[6:7], v[66:67], v[66:67]                    // 0000000079AC: D3B14006 18028542
	v_pk_fma_f32 v[4:5], v[4:5], s[78:79], v[8:9]              // 0000000079B4: D3B04004 1C209D04
	v_pk_fma_f32 v[6:7], v[6:7], s[78:79], v[8:9]              // 0000000079BC: D3B04006 1C209D06
	v_pk_mul_f32 v[4:5], v[4:5], v[64:65]                      // 0000000079C4: D3B14004 18028104
	v_pk_mul_f32 v[6:7], v[6:7], v[66:67]                      // 0000000079CC: D3B14006 18028506
	v_pk_mul_f32 v[4:5], v[4:5], s[60:61]                      // 0000000079D4: D3B14004 18007904
	v_pk_mul_f32 v[6:7], v[6:7], s[60:61]                      // 0000000079DC: D3B14006 18007906
	v_exp_f32_e32 v4, v4                                       // 0000000079E4: 7E084104
	v_exp_f32_e32 v5, v5                                       // 0000000079E8: 7E0A4105
	v_exp_f32_e32 v6, v6                                       // 0000000079EC: 7E0C4106
	v_exp_f32_e32 v7, v7                                       // 0000000079F0: 7E0E4107
	v_add_f32_e64 v4, v4, 1.0                                  // 0000000079F4: D1010004 0001E504
	v_add_f32_e64 v5, v5, 1.0                                  // 0000000079FC: D1010005 0001E505
	v_add_f32_e64 v6, v6, 1.0                                  // 000000007A04: D1010006 0001E506
	v_add_f32_e64 v7, v7, 1.0                                  // 000000007A0C: D1010007 0001E507
	v_rcp_f32_e32 v4, v4                                       // 000000007A14: 7E084504
	v_rcp_f32_e32 v5, v5                                       // 000000007A18: 7E0A4505
	v_rcp_f32_e32 v6, v6                                       // 000000007A1C: 7E0C4506
	v_rcp_f32_e32 v7, v7                                       // 000000007A20: 7E0E4507
	v_mul_f32_e32 v64, v64, v4                                 // 000000007A24: 0A800940
	v_mul_f32_e32 v65, v65, v5                                 // 000000007A28: 0A820B41
	v_mul_f32_e32 v66, v66, v6                                 // 000000007A2C: 0A840D42
	v_mul_f32_e32 v67, v67, v7                                 // 000000007A30: 0A860F43
	v_mul_f32_e32 v64, v64, v112                               // 000000007A34: 0A80E140
	v_mul_f32_e32 v65, v65, v113                               // 000000007A38: 0A82E341
	v_mul_f32_e32 v66, v66, v114                               // 000000007A3C: 0A84E542
	v_mul_f32_e32 v67, v67, v115                               // 000000007A40: 0A86E743
	v_pk_mul_f32 v[4:5], v[68:69], v[68:69]                    // 000000007A44: D3B14004 18028944
	v_pk_mul_f32 v[6:7], v[70:71], v[70:71]                    // 000000007A4C: D3B14006 18028D46
	v_pk_fma_f32 v[4:5], v[4:5], s[78:79], v[8:9]              // 000000007A54: D3B04004 1C209D04
	v_pk_fma_f32 v[6:7], v[6:7], s[78:79], v[8:9]              // 000000007A5C: D3B04006 1C209D06
	v_pk_mul_f32 v[4:5], v[4:5], v[68:69]                      // 000000007A64: D3B14004 18028904
	v_pk_mul_f32 v[6:7], v[6:7], v[70:71]                      // 000000007A6C: D3B14006 18028D06
	v_pk_mul_f32 v[4:5], v[4:5], s[60:61]                      // 000000007A74: D3B14004 18007904
	v_pk_mul_f32 v[6:7], v[6:7], s[60:61]                      // 000000007A7C: D3B14006 18007906
	v_exp_f32_e32 v4, v4                                       // 000000007A84: 7E084104
	v_exp_f32_e32 v5, v5                                       // 000000007A88: 7E0A4105
	v_exp_f32_e32 v6, v6                                       // 000000007A8C: 7E0C4106
	v_exp_f32_e32 v7, v7                                       // 000000007A90: 7E0E4107
	v_add_f32_e64 v4, v4, 1.0                                  // 000000007A94: D1010004 0001E504
	v_add_f32_e64 v5, v5, 1.0                                  // 000000007A9C: D1010005 0001E505
	v_add_f32_e64 v6, v6, 1.0                                  // 000000007AA4: D1010006 0001E506
	v_add_f32_e64 v7, v7, 1.0                                  // 000000007AAC: D1010007 0001E507
	v_rcp_f32_e32 v4, v4                                       // 000000007AB4: 7E084504
	v_rcp_f32_e32 v5, v5                                       // 000000007AB8: 7E0A4505
	v_rcp_f32_e32 v6, v6                                       // 000000007ABC: 7E0C4506
	v_rcp_f32_e32 v7, v7                                       // 000000007AC0: 7E0E4507
	v_mul_f32_e32 v68, v68, v4                                 // 000000007AC4: 0A880944
	v_mul_f32_e32 v69, v69, v5                                 // 000000007AC8: 0A8A0B45
	v_mul_f32_e32 v70, v70, v6                                 // 000000007ACC: 0A8C0D46
	v_mul_f32_e32 v71, v71, v7                                 // 000000007AD0: 0A8E0F47
	v_mul_f32_e32 v68, v68, v116                               // 000000007AD4: 0A88E944
	v_mul_f32_e32 v69, v69, v117                               // 000000007AD8: 0A8AEB45
	v_mul_f32_e32 v70, v70, v118                               // 000000007ADC: 0A8CED46
	v_mul_f32_e32 v71, v71, v119                               // 000000007AE0: 0A8EEF47
	v_pk_mul_f32 v[4:5], v[72:73], v[72:73]                    // 000000007AE4: D3B14004 18029148
	v_pk_mul_f32 v[6:7], v[74:75], v[74:75]                    // 000000007AEC: D3B14006 1802954A
	v_pk_fma_f32 v[4:5], v[4:5], s[78:79], v[8:9]              // 000000007AF4: D3B04004 1C209D04
	v_pk_fma_f32 v[6:7], v[6:7], s[78:79], v[8:9]              // 000000007AFC: D3B04006 1C209D06
	v_pk_mul_f32 v[4:5], v[4:5], v[72:73]                      // 000000007B04: D3B14004 18029104
	v_pk_mul_f32 v[6:7], v[6:7], v[74:75]                      // 000000007B0C: D3B14006 18029506
	v_pk_mul_f32 v[4:5], v[4:5], s[60:61]                      // 000000007B14: D3B14004 18007904
	v_pk_mul_f32 v[6:7], v[6:7], s[60:61]                      // 000000007B1C: D3B14006 18007906
	v_exp_f32_e32 v4, v4                                       // 000000007B24: 7E084104
	v_exp_f32_e32 v5, v5                                       // 000000007B28: 7E0A4105
	v_exp_f32_e32 v6, v6                                       // 000000007B2C: 7E0C4106
	v_exp_f32_e32 v7, v7                                       // 000000007B30: 7E0E4107
	v_add_f32_e64 v4, v4, 1.0                                  // 000000007B34: D1010004 0001E504
	v_add_f32_e64 v5, v5, 1.0                                  // 000000007B3C: D1010005 0001E505
	v_add_f32_e64 v6, v6, 1.0                                  // 000000007B44: D1010006 0001E506
	v_add_f32_e64 v7, v7, 1.0                                  // 000000007B4C: D1010007 0001E507
	v_rcp_f32_e32 v4, v4                                       // 000000007B54: 7E084504
	v_rcp_f32_e32 v5, v5                                       // 000000007B58: 7E0A4505
	v_rcp_f32_e32 v6, v6                                       // 000000007B5C: 7E0C4506
	v_rcp_f32_e32 v7, v7                                       // 000000007B60: 7E0E4507
	v_mul_f32_e32 v72, v72, v4                                 // 000000007B64: 0A900948
	v_mul_f32_e32 v73, v73, v5                                 // 000000007B68: 0A920B49
	v_mul_f32_e32 v74, v74, v6                                 // 000000007B6C: 0A940D4A
	v_mul_f32_e32 v75, v75, v7                                 // 000000007B70: 0A960F4B
	v_mul_f32_e32 v72, v72, v120                               // 000000007B74: 0A90F148
	v_mul_f32_e32 v73, v73, v121                               // 000000007B78: 0A92F349
	v_mul_f32_e32 v74, v74, v122                               // 000000007B7C: 0A94F54A
	v_mul_f32_e32 v75, v75, v123                               // 000000007B80: 0A96F74B
	v_pk_mul_f32 v[4:5], v[76:77], v[76:77]                    // 000000007B84: D3B14004 1802994C
	v_pk_mul_f32 v[6:7], v[78:79], v[78:79]                    // 000000007B8C: D3B14006 18029D4E
	v_pk_fma_f32 v[4:5], v[4:5], s[78:79], v[8:9]              // 000000007B94: D3B04004 1C209D04
	v_pk_fma_f32 v[6:7], v[6:7], s[78:79], v[8:9]              // 000000007B9C: D3B04006 1C209D06
	v_pk_mul_f32 v[4:5], v[4:5], v[76:77]                      // 000000007BA4: D3B14004 18029904
	v_pk_mul_f32 v[6:7], v[6:7], v[78:79]                      // 000000007BAC: D3B14006 18029D06
	v_pk_mul_f32 v[4:5], v[4:5], s[60:61]                      // 000000007BB4: D3B14004 18007904
	v_pk_mul_f32 v[6:7], v[6:7], s[60:61]                      // 000000007BBC: D3B14006 18007906
	v_exp_f32_e32 v4, v4                                       // 000000007BC4: 7E084104
	v_exp_f32_e32 v5, v5                                       // 000000007BC8: 7E0A4105
	v_exp_f32_e32 v6, v6                                       // 000000007BCC: 7E0C4106
	v_exp_f32_e32 v7, v7                                       // 000000007BD0: 7E0E4107
	v_add_f32_e64 v4, v4, 1.0                                  // 000000007BD4: D1010004 0001E504
	v_add_f32_e64 v5, v5, 1.0                                  // 000000007BDC: D1010005 0001E505
	v_add_f32_e64 v6, v6, 1.0                                  // 000000007BE4: D1010006 0001E506
	v_add_f32_e64 v7, v7, 1.0                                  // 000000007BEC: D1010007 0001E507
	v_rcp_f32_e32 v4, v4                                       // 000000007BF4: 7E084504
	v_rcp_f32_e32 v5, v5                                       // 000000007BF8: 7E0A4505
	v_rcp_f32_e32 v6, v6                                       // 000000007BFC: 7E0C4506
	v_rcp_f32_e32 v7, v7                                       // 000000007C00: 7E0E4507
	v_mul_f32_e32 v76, v76, v4                                 // 000000007C04: 0A98094C
	v_mul_f32_e32 v77, v77, v5                                 // 000000007C08: 0A9A0B4D
	v_mul_f32_e32 v78, v78, v6                                 // 000000007C0C: 0A9C0D4E
	v_mul_f32_e32 v79, v79, v7                                 // 000000007C10: 0A9E0F4F
	v_mul_f32_e32 v76, v76, v124                               // 000000007C14: 0A98F94C
	v_mul_f32_e32 v77, v77, v125                               // 000000007C18: 0A9AFB4D
	v_mul_f32_e32 v78, v78, v126                               // 000000007C1C: 0A9CFD4E
	v_mul_f32_e32 v79, v79, v127                               // 000000007C20: 0A9EFF4F
	v_pk_mul_f32 v[4:5], v[80:81], v[80:81]                    // 000000007C24: D3B14004 1802A150
	v_pk_mul_f32 v[6:7], v[82:83], v[82:83]                    // 000000007C2C: D3B14006 1802A552
	v_pk_fma_f32 v[4:5], v[4:5], s[78:79], v[8:9]              // 000000007C34: D3B04004 1C209D04
	v_pk_fma_f32 v[6:7], v[6:7], s[78:79], v[8:9]              // 000000007C3C: D3B04006 1C209D06
	v_pk_mul_f32 v[4:5], v[4:5], v[80:81]                      // 000000007C44: D3B14004 1802A104
	v_pk_mul_f32 v[6:7], v[6:7], v[82:83]                      // 000000007C4C: D3B14006 1802A506
	v_pk_mul_f32 v[4:5], v[4:5], s[60:61]                      // 000000007C54: D3B14004 18007904
	v_pk_mul_f32 v[6:7], v[6:7], s[60:61]                      // 000000007C5C: D3B14006 18007906
	v_exp_f32_e32 v4, v4                                       // 000000007C64: 7E084104
	v_exp_f32_e32 v5, v5                                       // 000000007C68: 7E0A4105
	v_exp_f32_e32 v6, v6                                       // 000000007C6C: 7E0C4106
	v_exp_f32_e32 v7, v7                                       // 000000007C70: 7E0E4107
	v_add_f32_e64 v4, v4, 1.0                                  // 000000007C74: D1010004 0001E504
	v_add_f32_e64 v5, v5, 1.0                                  // 000000007C7C: D1010005 0001E505
	v_add_f32_e64 v6, v6, 1.0                                  // 000000007C84: D1010006 0001E506
	v_add_f32_e64 v7, v7, 1.0                                  // 000000007C8C: D1010007 0001E507
	v_rcp_f32_e32 v4, v4                                       // 000000007C94: 7E084504
	v_rcp_f32_e32 v5, v5                                       // 000000007C98: 7E0A4505
	v_rcp_f32_e32 v6, v6                                       // 000000007C9C: 7E0C4506
	v_rcp_f32_e32 v7, v7                                       // 000000007CA0: 7E0E4507
	v_mul_f32_e32 v80, v80, v4                                 // 000000007CA4: 0AA00950
	v_mul_f32_e32 v81, v81, v5                                 // 000000007CA8: 0AA20B51
	v_mul_f32_e32 v82, v82, v6                                 // 000000007CAC: 0AA40D52
	v_mul_f32_e32 v83, v83, v7                                 // 000000007CB0: 0AA60F53
	v_mul_f32_e32 v80, v80, v128                               // 000000007CB4: 0AA10150
	v_mul_f32_e32 v81, v81, v129                               // 000000007CB8: 0AA30351
	v_mul_f32_e32 v82, v82, v130                               // 000000007CBC: 0AA50552
	v_mul_f32_e32 v83, v83, v131                               // 000000007CC0: 0AA70753
	v_pk_mul_f32 v[4:5], v[84:85], v[84:85]                    // 000000007CC4: D3B14004 1802A954
	v_pk_mul_f32 v[6:7], v[86:87], v[86:87]                    // 000000007CCC: D3B14006 1802AD56
	v_pk_fma_f32 v[4:5], v[4:5], s[78:79], v[8:9]              // 000000007CD4: D3B04004 1C209D04
	v_pk_fma_f32 v[6:7], v[6:7], s[78:79], v[8:9]              // 000000007CDC: D3B04006 1C209D06
	v_pk_mul_f32 v[4:5], v[4:5], v[84:85]                      // 000000007CE4: D3B14004 1802A904
	v_pk_mul_f32 v[6:7], v[6:7], v[86:87]                      // 000000007CEC: D3B14006 1802AD06
	v_pk_mul_f32 v[4:5], v[4:5], s[60:61]                      // 000000007CF4: D3B14004 18007904
	v_pk_mul_f32 v[6:7], v[6:7], s[60:61]                      // 000000007CFC: D3B14006 18007906
	v_exp_f32_e32 v4, v4                                       // 000000007D04: 7E084104
	v_exp_f32_e32 v5, v5                                       // 000000007D08: 7E0A4105
	v_exp_f32_e32 v6, v6                                       // 000000007D0C: 7E0C4106
	v_exp_f32_e32 v7, v7                                       // 000000007D10: 7E0E4107
	v_add_f32_e64 v4, v4, 1.0                                  // 000000007D14: D1010004 0001E504
	v_add_f32_e64 v5, v5, 1.0                                  // 000000007D1C: D1010005 0001E505
	v_add_f32_e64 v6, v6, 1.0                                  // 000000007D24: D1010006 0001E506
	v_add_f32_e64 v7, v7, 1.0                                  // 000000007D2C: D1010007 0001E507
	v_rcp_f32_e32 v4, v4                                       // 000000007D34: 7E084504
	v_rcp_f32_e32 v5, v5                                       // 000000007D38: 7E0A4505
	v_rcp_f32_e32 v6, v6                                       // 000000007D3C: 7E0C4506
	v_rcp_f32_e32 v7, v7                                       // 000000007D40: 7E0E4507
	v_mul_f32_e32 v84, v84, v4                                 // 000000007D44: 0AA80954
	v_mul_f32_e32 v85, v85, v5                                 // 000000007D48: 0AAA0B55
	v_mul_f32_e32 v86, v86, v6                                 // 000000007D4C: 0AAC0D56
	v_mul_f32_e32 v87, v87, v7                                 // 000000007D50: 0AAE0F57
	v_mul_f32_e32 v84, v84, v132                               // 000000007D54: 0AA90954
	v_mul_f32_e32 v85, v85, v133                               // 000000007D58: 0AAB0B55
	v_mul_f32_e32 v86, v86, v134                               // 000000007D5C: 0AAD0D56
	v_mul_f32_e32 v87, v87, v135                               // 000000007D60: 0AAF0F57
	v_pk_mul_f32 v[4:5], v[88:89], v[88:89]                    // 000000007D64: D3B14004 1802B158
	v_pk_mul_f32 v[6:7], v[90:91], v[90:91]                    // 000000007D6C: D3B14006 1802B55A
	v_pk_fma_f32 v[4:5], v[4:5], s[78:79], v[8:9]              // 000000007D74: D3B04004 1C209D04
	v_pk_fma_f32 v[6:7], v[6:7], s[78:79], v[8:9]              // 000000007D7C: D3B04006 1C209D06
	v_pk_mul_f32 v[4:5], v[4:5], v[88:89]                      // 000000007D84: D3B14004 1802B104
	v_pk_mul_f32 v[6:7], v[6:7], v[90:91]                      // 000000007D8C: D3B14006 1802B506
	v_pk_mul_f32 v[4:5], v[4:5], s[60:61]                      // 000000007D94: D3B14004 18007904
	v_pk_mul_f32 v[6:7], v[6:7], s[60:61]                      // 000000007D9C: D3B14006 18007906
	v_exp_f32_e32 v4, v4                                       // 000000007DA4: 7E084104
	v_exp_f32_e32 v5, v5                                       // 000000007DA8: 7E0A4105
	v_exp_f32_e32 v6, v6                                       // 000000007DAC: 7E0C4106
	v_exp_f32_e32 v7, v7                                       // 000000007DB0: 7E0E4107
	v_add_f32_e64 v4, v4, 1.0                                  // 000000007DB4: D1010004 0001E504
	v_add_f32_e64 v5, v5, 1.0                                  // 000000007DBC: D1010005 0001E505
	v_add_f32_e64 v6, v6, 1.0                                  // 000000007DC4: D1010006 0001E506
	v_add_f32_e64 v7, v7, 1.0                                  // 000000007DCC: D1010007 0001E507
	v_rcp_f32_e32 v4, v4                                       // 000000007DD4: 7E084504
	v_rcp_f32_e32 v5, v5                                       // 000000007DD8: 7E0A4505
	v_rcp_f32_e32 v6, v6                                       // 000000007DDC: 7E0C4506
	v_rcp_f32_e32 v7, v7                                       // 000000007DE0: 7E0E4507
	v_mul_f32_e32 v88, v88, v4                                 // 000000007DE4: 0AB00958
	v_mul_f32_e32 v89, v89, v5                                 // 000000007DE8: 0AB20B59
	v_mul_f32_e32 v90, v90, v6                                 // 000000007DEC: 0AB40D5A
	v_mul_f32_e32 v91, v91, v7                                 // 000000007DF0: 0AB60F5B
	v_mul_f32_e32 v88, v88, v136                               // 000000007DF4: 0AB11158
	v_mul_f32_e32 v89, v89, v137                               // 000000007DF8: 0AB31359
	v_mul_f32_e32 v90, v90, v138                               // 000000007DFC: 0AB5155A
	v_mul_f32_e32 v91, v91, v139                               // 000000007E00: 0AB7175B
	v_pk_mul_f32 v[4:5], v[92:93], v[92:93]                    // 000000007E04: D3B14004 1802B95C
	v_pk_mul_f32 v[6:7], v[94:95], v[94:95]                    // 000000007E0C: D3B14006 1802BD5E
	v_pk_fma_f32 v[4:5], v[4:5], s[78:79], v[8:9]              // 000000007E14: D3B04004 1C209D04
	v_pk_fma_f32 v[6:7], v[6:7], s[78:79], v[8:9]              // 000000007E1C: D3B04006 1C209D06
	v_pk_mul_f32 v[4:5], v[4:5], v[92:93]                      // 000000007E24: D3B14004 1802B904
	v_pk_mul_f32 v[6:7], v[6:7], v[94:95]                      // 000000007E2C: D3B14006 1802BD06
	v_pk_mul_f32 v[4:5], v[4:5], s[60:61]                      // 000000007E34: D3B14004 18007904
	v_pk_mul_f32 v[6:7], v[6:7], s[60:61]                      // 000000007E3C: D3B14006 18007906
	v_exp_f32_e32 v4, v4                                       // 000000007E44: 7E084104
	v_exp_f32_e32 v5, v5                                       // 000000007E48: 7E0A4105
	v_exp_f32_e32 v6, v6                                       // 000000007E4C: 7E0C4106
	v_exp_f32_e32 v7, v7                                       // 000000007E50: 7E0E4107
	v_add_f32_e64 v4, v4, 1.0                                  // 000000007E54: D1010004 0001E504
	v_add_f32_e64 v5, v5, 1.0                                  // 000000007E5C: D1010005 0001E505
	v_add_f32_e64 v6, v6, 1.0                                  // 000000007E64: D1010006 0001E506
	v_add_f32_e64 v7, v7, 1.0                                  // 000000007E6C: D1010007 0001E507
	v_rcp_f32_e32 v4, v4                                       // 000000007E74: 7E084504
	v_rcp_f32_e32 v5, v5                                       // 000000007E78: 7E0A4505
	v_rcp_f32_e32 v6, v6                                       // 000000007E7C: 7E0C4506
	v_rcp_f32_e32 v7, v7                                       // 000000007E80: 7E0E4507
	v_mul_f32_e32 v92, v92, v4                                 // 000000007E84: 0AB8095C
	v_mul_f32_e32 v93, v93, v5                                 // 000000007E88: 0ABA0B5D
	v_mul_f32_e32 v94, v94, v6                                 // 000000007E8C: 0ABC0D5E
	v_mul_f32_e32 v95, v95, v7                                 // 000000007E90: 0ABE0F5F
	v_mul_f32_e32 v92, v92, v140                               // 000000007E94: 0AB9195C
	v_mul_f32_e32 v93, v93, v141                               // 000000007E98: 0ABB1B5D
	v_mul_f32_e32 v94, v94, v142                               // 000000007E9C: 0ABD1D5E
	v_mul_f32_e32 v95, v95, v143                               // 000000007EA0: 0ABF1F5F
	v_pk_mul_f32 v[4:5], v[96:97], v[96:97]                    // 000000007EA4: D3B14004 1802C160
	v_pk_mul_f32 v[6:7], v[98:99], v[98:99]                    // 000000007EAC: D3B14006 1802C562
	v_pk_fma_f32 v[4:5], v[4:5], s[78:79], v[8:9]              // 000000007EB4: D3B04004 1C209D04
	v_pk_fma_f32 v[6:7], v[6:7], s[78:79], v[8:9]              // 000000007EBC: D3B04006 1C209D06
	v_pk_mul_f32 v[4:5], v[4:5], v[96:97]                      // 000000007EC4: D3B14004 1802C104
	v_pk_mul_f32 v[6:7], v[6:7], v[98:99]                      // 000000007ECC: D3B14006 1802C506
	v_pk_mul_f32 v[4:5], v[4:5], s[60:61]                      // 000000007ED4: D3B14004 18007904
	v_pk_mul_f32 v[6:7], v[6:7], s[60:61]                      // 000000007EDC: D3B14006 18007906
	v_exp_f32_e32 v4, v4                                       // 000000007EE4: 7E084104
	v_exp_f32_e32 v5, v5                                       // 000000007EE8: 7E0A4105
	v_exp_f32_e32 v6, v6                                       // 000000007EEC: 7E0C4106
	v_exp_f32_e32 v7, v7                                       // 000000007EF0: 7E0E4107
	v_add_f32_e64 v4, v4, 1.0                                  // 000000007EF4: D1010004 0001E504
	v_add_f32_e64 v5, v5, 1.0                                  // 000000007EFC: D1010005 0001E505
	v_add_f32_e64 v6, v6, 1.0                                  // 000000007F04: D1010006 0001E506
	v_add_f32_e64 v7, v7, 1.0                                  // 000000007F0C: D1010007 0001E507
	v_rcp_f32_e32 v4, v4                                       // 000000007F14: 7E084504
	v_rcp_f32_e32 v5, v5                                       // 000000007F18: 7E0A4505
	v_rcp_f32_e32 v6, v6                                       // 000000007F1C: 7E0C4506
	v_rcp_f32_e32 v7, v7                                       // 000000007F20: 7E0E4507
	v_mul_f32_e32 v96, v96, v4                                 // 000000007F24: 0AC00960
	v_mul_f32_e32 v97, v97, v5                                 // 000000007F28: 0AC20B61
	v_mul_f32_e32 v98, v98, v6                                 // 000000007F2C: 0AC40D62
	v_mul_f32_e32 v99, v99, v7                                 // 000000007F30: 0AC60F63
	v_mul_f32_e32 v96, v96, v144                               // 000000007F34: 0AC12160
	v_mul_f32_e32 v97, v97, v145                               // 000000007F38: 0AC32361
	v_mul_f32_e32 v98, v98, v146                               // 000000007F3C: 0AC52562
	v_mul_f32_e32 v99, v99, v147                               // 000000007F40: 0AC72763
	s_branch label_16D5                                        // 000000007F44: BF820180

0000000000007f48 <label_1555>:
	v_mul_f32_e64 v4, -v52, s6                                 // 000000007F48: D1050004 20000D34
	v_mul_f32_e64 v5, -v53, s6                                 // 000000007F50: D1050005 20000D35
	v_mul_f32_e64 v6, -v54, s6                                 // 000000007F58: D1050006 20000D36
	v_mul_f32_e64 v7, -v55, s6                                 // 000000007F60: D1050007 20000D37
	v_exp_f32_e32 v4, v4                                       // 000000007F68: 7E084104
	v_exp_f32_e32 v5, v5                                       // 000000007F6C: 7E0A4105
	v_exp_f32_e32 v6, v6                                       // 000000007F70: 7E0C4106
	v_exp_f32_e32 v7, v7                                       // 000000007F74: 7E0E4107
	v_add_f32_e64 v4, v4, 1.0                                  // 000000007F78: D1010004 0001E504
	v_add_f32_e64 v5, v5, 1.0                                  // 000000007F80: D1010005 0001E505
	v_add_f32_e64 v6, v6, 1.0                                  // 000000007F88: D1010006 0001E506
	v_add_f32_e64 v7, v7, 1.0                                  // 000000007F90: D1010007 0001E507
	v_rcp_f32_e32 v4, v4                                       // 000000007F98: 7E084504
	v_rcp_f32_e32 v5, v5                                       // 000000007F9C: 7E0A4505
	v_rcp_f32_e32 v6, v6                                       // 000000007FA0: 7E0C4506
	v_rcp_f32_e32 v7, v7                                       // 000000007FA4: 7E0E4507
	v_mul_f32_e32 v52, v52, v4                                 // 000000007FA8: 0A680934
	v_mul_f32_e32 v53, v53, v5                                 // 000000007FAC: 0A6A0B35
	v_mul_f32_e32 v54, v54, v6                                 // 000000007FB0: 0A6C0D36
	v_mul_f32_e32 v55, v55, v7                                 // 000000007FB4: 0A6E0F37
	v_mul_f32_e32 v52, v52, v100                               // 000000007FB8: 0A68C934
	v_mul_f32_e32 v53, v53, v101                               // 000000007FBC: 0A6ACB35
	v_mul_f32_e32 v54, v54, v102                               // 000000007FC0: 0A6CCD36
	v_mul_f32_e32 v55, v55, v103                               // 000000007FC4: 0A6ECF37
	v_mul_f32_e64 v4, -v56, s6                                 // 000000007FC8: D1050004 20000D38
	v_mul_f32_e64 v5, -v57, s6                                 // 000000007FD0: D1050005 20000D39
	v_mul_f32_e64 v6, -v58, s6                                 // 000000007FD8: D1050006 20000D3A
	v_mul_f32_e64 v7, -v59, s6                                 // 000000007FE0: D1050007 20000D3B
	v_exp_f32_e32 v4, v4                                       // 000000007FE8: 7E084104
	v_exp_f32_e32 v5, v5                                       // 000000007FEC: 7E0A4105
	v_exp_f32_e32 v6, v6                                       // 000000007FF0: 7E0C4106
	v_exp_f32_e32 v7, v7                                       // 000000007FF4: 7E0E4107
	v_add_f32_e64 v4, v4, 1.0                                  // 000000007FF8: D1010004 0001E504
	v_add_f32_e64 v5, v5, 1.0                                  // 000000008000: D1010005 0001E505
	v_add_f32_e64 v6, v6, 1.0                                  // 000000008008: D1010006 0001E506
	v_add_f32_e64 v7, v7, 1.0                                  // 000000008010: D1010007 0001E507
	v_rcp_f32_e32 v4, v4                                       // 000000008018: 7E084504
	v_rcp_f32_e32 v5, v5                                       // 00000000801C: 7E0A4505
	v_rcp_f32_e32 v6, v6                                       // 000000008020: 7E0C4506
	v_rcp_f32_e32 v7, v7                                       // 000000008024: 7E0E4507
	v_mul_f32_e32 v56, v56, v4                                 // 000000008028: 0A700938
	v_mul_f32_e32 v57, v57, v5                                 // 00000000802C: 0A720B39
	v_mul_f32_e32 v58, v58, v6                                 // 000000008030: 0A740D3A
	v_mul_f32_e32 v59, v59, v7                                 // 000000008034: 0A760F3B
	v_mul_f32_e32 v56, v56, v104                               // 000000008038: 0A70D138
	v_mul_f32_e32 v57, v57, v105                               // 00000000803C: 0A72D339
	v_mul_f32_e32 v58, v58, v106                               // 000000008040: 0A74D53A
	v_mul_f32_e32 v59, v59, v107                               // 000000008044: 0A76D73B
	v_mul_f32_e64 v4, -v60, s6                                 // 000000008048: D1050004 20000D3C
	v_mul_f32_e64 v5, -v61, s6                                 // 000000008050: D1050005 20000D3D
	v_mul_f32_e64 v6, -v62, s6                                 // 000000008058: D1050006 20000D3E
	v_mul_f32_e64 v7, -v63, s6                                 // 000000008060: D1050007 20000D3F
	v_exp_f32_e32 v4, v4                                       // 000000008068: 7E084104
	v_exp_f32_e32 v5, v5                                       // 00000000806C: 7E0A4105
	v_exp_f32_e32 v6, v6                                       // 000000008070: 7E0C4106
	v_exp_f32_e32 v7, v7                                       // 000000008074: 7E0E4107
	v_add_f32_e64 v4, v4, 1.0                                  // 000000008078: D1010004 0001E504
	v_add_f32_e64 v5, v5, 1.0                                  // 000000008080: D1010005 0001E505
	v_add_f32_e64 v6, v6, 1.0                                  // 000000008088: D1010006 0001E506
	v_add_f32_e64 v7, v7, 1.0                                  // 000000008090: D1010007 0001E507
	v_rcp_f32_e32 v4, v4                                       // 000000008098: 7E084504
	v_rcp_f32_e32 v5, v5                                       // 00000000809C: 7E0A4505
	v_rcp_f32_e32 v6, v6                                       // 0000000080A0: 7E0C4506
	v_rcp_f32_e32 v7, v7                                       // 0000000080A4: 7E0E4507
	v_mul_f32_e32 v60, v60, v4                                 // 0000000080A8: 0A78093C
	v_mul_f32_e32 v61, v61, v5                                 // 0000000080AC: 0A7A0B3D
	v_mul_f32_e32 v62, v62, v6                                 // 0000000080B0: 0A7C0D3E
	v_mul_f32_e32 v63, v63, v7                                 // 0000000080B4: 0A7E0F3F
	v_mul_f32_e32 v60, v60, v108                               // 0000000080B8: 0A78D93C
	v_mul_f32_e32 v61, v61, v109                               // 0000000080BC: 0A7ADB3D
	v_mul_f32_e32 v62, v62, v110                               // 0000000080C0: 0A7CDD3E
	v_mul_f32_e32 v63, v63, v111                               // 0000000080C4: 0A7EDF3F
	v_mul_f32_e64 v4, -v64, s6                                 // 0000000080C8: D1050004 20000D40
	v_mul_f32_e64 v5, -v65, s6                                 // 0000000080D0: D1050005 20000D41
	v_mul_f32_e64 v6, -v66, s6                                 // 0000000080D8: D1050006 20000D42
	v_mul_f32_e64 v7, -v67, s6                                 // 0000000080E0: D1050007 20000D43
	v_exp_f32_e32 v4, v4                                       // 0000000080E8: 7E084104
	v_exp_f32_e32 v5, v5                                       // 0000000080EC: 7E0A4105
	v_exp_f32_e32 v6, v6                                       // 0000000080F0: 7E0C4106
	v_exp_f32_e32 v7, v7                                       // 0000000080F4: 7E0E4107
	v_add_f32_e64 v4, v4, 1.0                                  // 0000000080F8: D1010004 0001E504
	v_add_f32_e64 v5, v5, 1.0                                  // 000000008100: D1010005 0001E505
	v_add_f32_e64 v6, v6, 1.0                                  // 000000008108: D1010006 0001E506
	v_add_f32_e64 v7, v7, 1.0                                  // 000000008110: D1010007 0001E507
	v_rcp_f32_e32 v4, v4                                       // 000000008118: 7E084504
	v_rcp_f32_e32 v5, v5                                       // 00000000811C: 7E0A4505
	v_rcp_f32_e32 v6, v6                                       // 000000008120: 7E0C4506
	v_rcp_f32_e32 v7, v7                                       // 000000008124: 7E0E4507
	v_mul_f32_e32 v64, v64, v4                                 // 000000008128: 0A800940
	v_mul_f32_e32 v65, v65, v5                                 // 00000000812C: 0A820B41
	v_mul_f32_e32 v66, v66, v6                                 // 000000008130: 0A840D42
	v_mul_f32_e32 v67, v67, v7                                 // 000000008134: 0A860F43
	v_mul_f32_e32 v64, v64, v112                               // 000000008138: 0A80E140
	v_mul_f32_e32 v65, v65, v113                               // 00000000813C: 0A82E341
	v_mul_f32_e32 v66, v66, v114                               // 000000008140: 0A84E542
	v_mul_f32_e32 v67, v67, v115                               // 000000008144: 0A86E743
	v_mul_f32_e64 v4, -v68, s6                                 // 000000008148: D1050004 20000D44
	v_mul_f32_e64 v5, -v69, s6                                 // 000000008150: D1050005 20000D45
	v_mul_f32_e64 v6, -v70, s6                                 // 000000008158: D1050006 20000D46
	v_mul_f32_e64 v7, -v71, s6                                 // 000000008160: D1050007 20000D47
	v_exp_f32_e32 v4, v4                                       // 000000008168: 7E084104
	v_exp_f32_e32 v5, v5                                       // 00000000816C: 7E0A4105
	v_exp_f32_e32 v6, v6                                       // 000000008170: 7E0C4106
	v_exp_f32_e32 v7, v7                                       // 000000008174: 7E0E4107
	v_add_f32_e64 v4, v4, 1.0                                  // 000000008178: D1010004 0001E504
	v_add_f32_e64 v5, v5, 1.0                                  // 000000008180: D1010005 0001E505
	v_add_f32_e64 v6, v6, 1.0                                  // 000000008188: D1010006 0001E506
	v_add_f32_e64 v7, v7, 1.0                                  // 000000008190: D1010007 0001E507
	v_rcp_f32_e32 v4, v4                                       // 000000008198: 7E084504
	v_rcp_f32_e32 v5, v5                                       // 00000000819C: 7E0A4505
	v_rcp_f32_e32 v6, v6                                       // 0000000081A0: 7E0C4506
	v_rcp_f32_e32 v7, v7                                       // 0000000081A4: 7E0E4507
	v_mul_f32_e32 v68, v68, v4                                 // 0000000081A8: 0A880944
	v_mul_f32_e32 v69, v69, v5                                 // 0000000081AC: 0A8A0B45
	v_mul_f32_e32 v70, v70, v6                                 // 0000000081B0: 0A8C0D46
	v_mul_f32_e32 v71, v71, v7                                 // 0000000081B4: 0A8E0F47
	v_mul_f32_e32 v68, v68, v116                               // 0000000081B8: 0A88E944
	v_mul_f32_e32 v69, v69, v117                               // 0000000081BC: 0A8AEB45
	v_mul_f32_e32 v70, v70, v118                               // 0000000081C0: 0A8CED46
	v_mul_f32_e32 v71, v71, v119                               // 0000000081C4: 0A8EEF47
	v_mul_f32_e64 v4, -v72, s6                                 // 0000000081C8: D1050004 20000D48
	v_mul_f32_e64 v5, -v73, s6                                 // 0000000081D0: D1050005 20000D49
	v_mul_f32_e64 v6, -v74, s6                                 // 0000000081D8: D1050006 20000D4A
	v_mul_f32_e64 v7, -v75, s6                                 // 0000000081E0: D1050007 20000D4B
	v_exp_f32_e32 v4, v4                                       // 0000000081E8: 7E084104
	v_exp_f32_e32 v5, v5                                       // 0000000081EC: 7E0A4105
	v_exp_f32_e32 v6, v6                                       // 0000000081F0: 7E0C4106
	v_exp_f32_e32 v7, v7                                       // 0000000081F4: 7E0E4107
	v_add_f32_e64 v4, v4, 1.0                                  // 0000000081F8: D1010004 0001E504
	v_add_f32_e64 v5, v5, 1.0                                  // 000000008200: D1010005 0001E505
	v_add_f32_e64 v6, v6, 1.0                                  // 000000008208: D1010006 0001E506
	v_add_f32_e64 v7, v7, 1.0                                  // 000000008210: D1010007 0001E507
	v_rcp_f32_e32 v4, v4                                       // 000000008218: 7E084504
	v_rcp_f32_e32 v5, v5                                       // 00000000821C: 7E0A4505
	v_rcp_f32_e32 v6, v6                                       // 000000008220: 7E0C4506
	v_rcp_f32_e32 v7, v7                                       // 000000008224: 7E0E4507
	v_mul_f32_e32 v72, v72, v4                                 // 000000008228: 0A900948
	v_mul_f32_e32 v73, v73, v5                                 // 00000000822C: 0A920B49
	v_mul_f32_e32 v74, v74, v6                                 // 000000008230: 0A940D4A
	v_mul_f32_e32 v75, v75, v7                                 // 000000008234: 0A960F4B
	v_mul_f32_e32 v72, v72, v120                               // 000000008238: 0A90F148
	v_mul_f32_e32 v73, v73, v121                               // 00000000823C: 0A92F349
	v_mul_f32_e32 v74, v74, v122                               // 000000008240: 0A94F54A
	v_mul_f32_e32 v75, v75, v123                               // 000000008244: 0A96F74B
	v_mul_f32_e64 v4, -v76, s6                                 // 000000008248: D1050004 20000D4C
	v_mul_f32_e64 v5, -v77, s6                                 // 000000008250: D1050005 20000D4D
	v_mul_f32_e64 v6, -v78, s6                                 // 000000008258: D1050006 20000D4E
	v_mul_f32_e64 v7, -v79, s6                                 // 000000008260: D1050007 20000D4F
	v_exp_f32_e32 v4, v4                                       // 000000008268: 7E084104
	v_exp_f32_e32 v5, v5                                       // 00000000826C: 7E0A4105
	v_exp_f32_e32 v6, v6                                       // 000000008270: 7E0C4106
	v_exp_f32_e32 v7, v7                                       // 000000008274: 7E0E4107
	v_add_f32_e64 v4, v4, 1.0                                  // 000000008278: D1010004 0001E504
	v_add_f32_e64 v5, v5, 1.0                                  // 000000008280: D1010005 0001E505
	v_add_f32_e64 v6, v6, 1.0                                  // 000000008288: D1010006 0001E506
	v_add_f32_e64 v7, v7, 1.0                                  // 000000008290: D1010007 0001E507
	v_rcp_f32_e32 v4, v4                                       // 000000008298: 7E084504
	v_rcp_f32_e32 v5, v5                                       // 00000000829C: 7E0A4505
	v_rcp_f32_e32 v6, v6                                       // 0000000082A0: 7E0C4506
	v_rcp_f32_e32 v7, v7                                       // 0000000082A4: 7E0E4507
	v_mul_f32_e32 v76, v76, v4                                 // 0000000082A8: 0A98094C
	v_mul_f32_e32 v77, v77, v5                                 // 0000000082AC: 0A9A0B4D
	v_mul_f32_e32 v78, v78, v6                                 // 0000000082B0: 0A9C0D4E
	v_mul_f32_e32 v79, v79, v7                                 // 0000000082B4: 0A9E0F4F
	v_mul_f32_e32 v76, v76, v124                               // 0000000082B8: 0A98F94C
	v_mul_f32_e32 v77, v77, v125                               // 0000000082BC: 0A9AFB4D
	v_mul_f32_e32 v78, v78, v126                               // 0000000082C0: 0A9CFD4E
	v_mul_f32_e32 v79, v79, v127                               // 0000000082C4: 0A9EFF4F
	v_mul_f32_e64 v4, -v80, s6                                 // 0000000082C8: D1050004 20000D50
	v_mul_f32_e64 v5, -v81, s6                                 // 0000000082D0: D1050005 20000D51
	v_mul_f32_e64 v6, -v82, s6                                 // 0000000082D8: D1050006 20000D52
	v_mul_f32_e64 v7, -v83, s6                                 // 0000000082E0: D1050007 20000D53
	v_exp_f32_e32 v4, v4                                       // 0000000082E8: 7E084104
	v_exp_f32_e32 v5, v5                                       // 0000000082EC: 7E0A4105
	v_exp_f32_e32 v6, v6                                       // 0000000082F0: 7E0C4106
	v_exp_f32_e32 v7, v7                                       // 0000000082F4: 7E0E4107
	v_add_f32_e64 v4, v4, 1.0                                  // 0000000082F8: D1010004 0001E504
	v_add_f32_e64 v5, v5, 1.0                                  // 000000008300: D1010005 0001E505
	v_add_f32_e64 v6, v6, 1.0                                  // 000000008308: D1010006 0001E506
	v_add_f32_e64 v7, v7, 1.0                                  // 000000008310: D1010007 0001E507
	v_rcp_f32_e32 v4, v4                                       // 000000008318: 7E084504
	v_rcp_f32_e32 v5, v5                                       // 00000000831C: 7E0A4505
	v_rcp_f32_e32 v6, v6                                       // 000000008320: 7E0C4506
	v_rcp_f32_e32 v7, v7                                       // 000000008324: 7E0E4507
	v_mul_f32_e32 v80, v80, v4                                 // 000000008328: 0AA00950
	v_mul_f32_e32 v81, v81, v5                                 // 00000000832C: 0AA20B51
	v_mul_f32_e32 v82, v82, v6                                 // 000000008330: 0AA40D52
	v_mul_f32_e32 v83, v83, v7                                 // 000000008334: 0AA60F53
	v_mul_f32_e32 v80, v80, v128                               // 000000008338: 0AA10150
	v_mul_f32_e32 v81, v81, v129                               // 00000000833C: 0AA30351
	v_mul_f32_e32 v82, v82, v130                               // 000000008340: 0AA50552
	v_mul_f32_e32 v83, v83, v131                               // 000000008344: 0AA70753
	v_mul_f32_e64 v4, -v84, s6                                 // 000000008348: D1050004 20000D54
	v_mul_f32_e64 v5, -v85, s6                                 // 000000008350: D1050005 20000D55
	v_mul_f32_e64 v6, -v86, s6                                 // 000000008358: D1050006 20000D56
	v_mul_f32_e64 v7, -v87, s6                                 // 000000008360: D1050007 20000D57
	v_exp_f32_e32 v4, v4                                       // 000000008368: 7E084104
	v_exp_f32_e32 v5, v5                                       // 00000000836C: 7E0A4105
	v_exp_f32_e32 v6, v6                                       // 000000008370: 7E0C4106
	v_exp_f32_e32 v7, v7                                       // 000000008374: 7E0E4107
	v_add_f32_e64 v4, v4, 1.0                                  // 000000008378: D1010004 0001E504
	v_add_f32_e64 v5, v5, 1.0                                  // 000000008380: D1010005 0001E505
	v_add_f32_e64 v6, v6, 1.0                                  // 000000008388: D1010006 0001E506
	v_add_f32_e64 v7, v7, 1.0                                  // 000000008390: D1010007 0001E507
	v_rcp_f32_e32 v4, v4                                       // 000000008398: 7E084504
	v_rcp_f32_e32 v5, v5                                       // 00000000839C: 7E0A4505
	v_rcp_f32_e32 v6, v6                                       // 0000000083A0: 7E0C4506
	v_rcp_f32_e32 v7, v7                                       // 0000000083A4: 7E0E4507
	v_mul_f32_e32 v84, v84, v4                                 // 0000000083A8: 0AA80954
	v_mul_f32_e32 v85, v85, v5                                 // 0000000083AC: 0AAA0B55
	v_mul_f32_e32 v86, v86, v6                                 // 0000000083B0: 0AAC0D56
	v_mul_f32_e32 v87, v87, v7                                 // 0000000083B4: 0AAE0F57
	v_mul_f32_e32 v84, v84, v132                               // 0000000083B8: 0AA90954
	v_mul_f32_e32 v85, v85, v133                               // 0000000083BC: 0AAB0B55
	v_mul_f32_e32 v86, v86, v134                               // 0000000083C0: 0AAD0D56
	v_mul_f32_e32 v87, v87, v135                               // 0000000083C4: 0AAF0F57
	v_mul_f32_e64 v4, -v88, s6                                 // 0000000083C8: D1050004 20000D58
	v_mul_f32_e64 v5, -v89, s6                                 // 0000000083D0: D1050005 20000D59
	v_mul_f32_e64 v6, -v90, s6                                 // 0000000083D8: D1050006 20000D5A
	v_mul_f32_e64 v7, -v91, s6                                 // 0000000083E0: D1050007 20000D5B
	v_exp_f32_e32 v4, v4                                       // 0000000083E8: 7E084104
	v_exp_f32_e32 v5, v5                                       // 0000000083EC: 7E0A4105
	v_exp_f32_e32 v6, v6                                       // 0000000083F0: 7E0C4106
	v_exp_f32_e32 v7, v7                                       // 0000000083F4: 7E0E4107
	v_add_f32_e64 v4, v4, 1.0                                  // 0000000083F8: D1010004 0001E504
	v_add_f32_e64 v5, v5, 1.0                                  // 000000008400: D1010005 0001E505
	v_add_f32_e64 v6, v6, 1.0                                  // 000000008408: D1010006 0001E506
	v_add_f32_e64 v7, v7, 1.0                                  // 000000008410: D1010007 0001E507
	v_rcp_f32_e32 v4, v4                                       // 000000008418: 7E084504
	v_rcp_f32_e32 v5, v5                                       // 00000000841C: 7E0A4505
	v_rcp_f32_e32 v6, v6                                       // 000000008420: 7E0C4506
	v_rcp_f32_e32 v7, v7                                       // 000000008424: 7E0E4507
	v_mul_f32_e32 v88, v88, v4                                 // 000000008428: 0AB00958
	v_mul_f32_e32 v89, v89, v5                                 // 00000000842C: 0AB20B59
	v_mul_f32_e32 v90, v90, v6                                 // 000000008430: 0AB40D5A
	v_mul_f32_e32 v91, v91, v7                                 // 000000008434: 0AB60F5B
	v_mul_f32_e32 v88, v88, v136                               // 000000008438: 0AB11158
	v_mul_f32_e32 v89, v89, v137                               // 00000000843C: 0AB31359
	v_mul_f32_e32 v90, v90, v138                               // 000000008440: 0AB5155A
	v_mul_f32_e32 v91, v91, v139                               // 000000008444: 0AB7175B
	v_mul_f32_e64 v4, -v92, s6                                 // 000000008448: D1050004 20000D5C
	v_mul_f32_e64 v5, -v93, s6                                 // 000000008450: D1050005 20000D5D
	v_mul_f32_e64 v6, -v94, s6                                 // 000000008458: D1050006 20000D5E
	v_mul_f32_e64 v7, -v95, s6                                 // 000000008460: D1050007 20000D5F
	v_exp_f32_e32 v4, v4                                       // 000000008468: 7E084104
	v_exp_f32_e32 v5, v5                                       // 00000000846C: 7E0A4105
	v_exp_f32_e32 v6, v6                                       // 000000008470: 7E0C4106
	v_exp_f32_e32 v7, v7                                       // 000000008474: 7E0E4107
	v_add_f32_e64 v4, v4, 1.0                                  // 000000008478: D1010004 0001E504
	v_add_f32_e64 v5, v5, 1.0                                  // 000000008480: D1010005 0001E505
	v_add_f32_e64 v6, v6, 1.0                                  // 000000008488: D1010006 0001E506
	v_add_f32_e64 v7, v7, 1.0                                  // 000000008490: D1010007 0001E507
	v_rcp_f32_e32 v4, v4                                       // 000000008498: 7E084504
	v_rcp_f32_e32 v5, v5                                       // 00000000849C: 7E0A4505
	v_rcp_f32_e32 v6, v6                                       // 0000000084A0: 7E0C4506
	v_rcp_f32_e32 v7, v7                                       // 0000000084A4: 7E0E4507
	v_mul_f32_e32 v92, v92, v4                                 // 0000000084A8: 0AB8095C
	v_mul_f32_e32 v93, v93, v5                                 // 0000000084AC: 0ABA0B5D
	v_mul_f32_e32 v94, v94, v6                                 // 0000000084B0: 0ABC0D5E
	v_mul_f32_e32 v95, v95, v7                                 // 0000000084B4: 0ABE0F5F
	v_mul_f32_e32 v92, v92, v140                               // 0000000084B8: 0AB9195C
	v_mul_f32_e32 v93, v93, v141                               // 0000000084BC: 0ABB1B5D
	v_mul_f32_e32 v94, v94, v142                               // 0000000084C0: 0ABD1D5E
	v_mul_f32_e32 v95, v95, v143                               // 0000000084C4: 0ABF1F5F
	v_mul_f32_e64 v4, -v96, s6                                 // 0000000084C8: D1050004 20000D60
	v_mul_f32_e64 v5, -v97, s6                                 // 0000000084D0: D1050005 20000D61
	v_mul_f32_e64 v6, -v98, s6                                 // 0000000084D8: D1050006 20000D62
	v_mul_f32_e64 v7, -v99, s6                                 // 0000000084E0: D1050007 20000D63
	v_exp_f32_e32 v4, v4                                       // 0000000084E8: 7E084104
	v_exp_f32_e32 v5, v5                                       // 0000000084EC: 7E0A4105
	v_exp_f32_e32 v6, v6                                       // 0000000084F0: 7E0C4106
	v_exp_f32_e32 v7, v7                                       // 0000000084F4: 7E0E4107
	v_add_f32_e64 v4, v4, 1.0                                  // 0000000084F8: D1010004 0001E504
	v_add_f32_e64 v5, v5, 1.0                                  // 000000008500: D1010005 0001E505
	v_add_f32_e64 v6, v6, 1.0                                  // 000000008508: D1010006 0001E506
	v_add_f32_e64 v7, v7, 1.0                                  // 000000008510: D1010007 0001E507
	v_rcp_f32_e32 v4, v4                                       // 000000008518: 7E084504
	v_rcp_f32_e32 v5, v5                                       // 00000000851C: 7E0A4505
	v_rcp_f32_e32 v6, v6                                       // 000000008520: 7E0C4506
	v_rcp_f32_e32 v7, v7                                       // 000000008524: 7E0E4507
	v_mul_f32_e32 v96, v96, v4                                 // 000000008528: 0AC00960
	v_mul_f32_e32 v97, v97, v5                                 // 00000000852C: 0AC20B61
	v_mul_f32_e32 v98, v98, v6                                 // 000000008530: 0AC40D62
	v_mul_f32_e32 v99, v99, v7                                 // 000000008534: 0AC60F63
	v_mul_f32_e32 v96, v96, v144                               // 000000008538: 0AC12160
	v_mul_f32_e32 v97, v97, v145                               // 00000000853C: 0AC32361
	v_mul_f32_e32 v98, v98, v146                               // 000000008540: 0AC52562
	v_mul_f32_e32 v99, v99, v147                               // 000000008544: 0AC72763

0000000000008548 <label_16D5>:
	v_cmp_u_f32_e64 s[46:47], v52, v52                         // 000000008548: D048002E 00026934
	v_add3_u32 v16, v52, v19, 1                                // 000000008550: D1FF0010 02062734
	v_cndmask_b32_e64 v4, v16, v18, s[46:47]                   // 000000008558: D1000004 00BA2510
	v_cmp_u_f32_e64 s[46:47], v53, v53                         // 000000008560: D048002E 00026B35
	v_add3_u32 v16, v53, v19, 1                                // 000000008568: D1FF0010 02062735
	v_cndmask_b32_e64 v5, v16, v18, s[46:47]                   // 000000008570: D1000005 00BA2510
	v_perm_b32 v52, v5, v4, s52                                // 000000008578: D1ED0034 00D20905
	v_cmp_u_f32_e64 s[46:47], v54, v54                         // 000000008580: D048002E 00026D36
	v_add3_u32 v16, v54, v19, 1                                // 000000008588: D1FF0010 02062736
	v_cndmask_b32_e64 v4, v16, v18, s[46:47]                   // 000000008590: D1000004 00BA2510
	v_cmp_u_f32_e64 s[46:47], v55, v55                         // 000000008598: D048002E 00026F37
	v_add3_u32 v16, v55, v19, 1                                // 0000000085A0: D1FF0010 02062737
	v_cndmask_b32_e64 v5, v16, v18, s[46:47]                   // 0000000085A8: D1000005 00BA2510
	v_perm_b32 v53, v5, v4, s52                                // 0000000085B0: D1ED0035 00D20905
	v_cmp_u_f32_e64 s[46:47], v56, v56                         // 0000000085B8: D048002E 00027138
	v_add3_u32 v16, v56, v19, 1                                // 0000000085C0: D1FF0010 02062738
	v_cndmask_b32_e64 v4, v16, v18, s[46:47]                   // 0000000085C8: D1000004 00BA2510
	v_cmp_u_f32_e64 s[46:47], v57, v57                         // 0000000085D0: D048002E 00027339
	v_add3_u32 v16, v57, v19, 1                                // 0000000085D8: D1FF0010 02062739
	v_cndmask_b32_e64 v5, v16, v18, s[46:47]                   // 0000000085E0: D1000005 00BA2510
	v_perm_b32 v54, v5, v4, s52                                // 0000000085E8: D1ED0036 00D20905
	v_cmp_u_f32_e64 s[46:47], v58, v58                         // 0000000085F0: D048002E 0002753A
	v_add3_u32 v16, v58, v19, 1                                // 0000000085F8: D1FF0010 0206273A
	v_cndmask_b32_e64 v4, v16, v18, s[46:47]                   // 000000008600: D1000004 00BA2510
	v_cmp_u_f32_e64 s[46:47], v59, v59                         // 000000008608: D048002E 0002773B
	v_add3_u32 v16, v59, v19, 1                                // 000000008610: D1FF0010 0206273B
	v_cndmask_b32_e64 v5, v16, v18, s[46:47]                   // 000000008618: D1000005 00BA2510
	v_perm_b32 v55, v5, v4, s52                                // 000000008620: D1ED0037 00D20905
	v_cmp_u_f32_e64 s[46:47], v60, v60                         // 000000008628: D048002E 0002793C
	v_add3_u32 v16, v60, v19, 1                                // 000000008630: D1FF0010 0206273C
	v_cndmask_b32_e64 v4, v16, v18, s[46:47]                   // 000000008638: D1000004 00BA2510
	v_cmp_u_f32_e64 s[46:47], v61, v61                         // 000000008640: D048002E 00027B3D
	v_add3_u32 v16, v61, v19, 1                                // 000000008648: D1FF0010 0206273D
	v_cndmask_b32_e64 v5, v16, v18, s[46:47]                   // 000000008650: D1000005 00BA2510
	v_perm_b32 v56, v5, v4, s52                                // 000000008658: D1ED0038 00D20905
	v_cmp_u_f32_e64 s[46:47], v62, v62                         // 000000008660: D048002E 00027D3E
	v_add3_u32 v16, v62, v19, 1                                // 000000008668: D1FF0010 0206273E
	v_cndmask_b32_e64 v4, v16, v18, s[46:47]                   // 000000008670: D1000004 00BA2510
	v_cmp_u_f32_e64 s[46:47], v63, v63                         // 000000008678: D048002E 00027F3F
	v_add3_u32 v16, v63, v19, 1                                // 000000008680: D1FF0010 0206273F
	v_cndmask_b32_e64 v5, v16, v18, s[46:47]                   // 000000008688: D1000005 00BA2510
	v_perm_b32 v57, v5, v4, s52                                // 000000008690: D1ED0039 00D20905
	v_cmp_u_f32_e64 s[46:47], v64, v64                         // 000000008698: D048002E 00028140
	v_add3_u32 v16, v64, v19, 1                                // 0000000086A0: D1FF0010 02062740
	v_cndmask_b32_e64 v4, v16, v18, s[46:47]                   // 0000000086A8: D1000004 00BA2510
	v_cmp_u_f32_e64 s[46:47], v65, v65                         // 0000000086B0: D048002E 00028341
	v_add3_u32 v16, v65, v19, 1                                // 0000000086B8: D1FF0010 02062741
	v_cndmask_b32_e64 v5, v16, v18, s[46:47]                   // 0000000086C0: D1000005 00BA2510
	v_perm_b32 v58, v5, v4, s52                                // 0000000086C8: D1ED003A 00D20905
	v_cmp_u_f32_e64 s[46:47], v66, v66                         // 0000000086D0: D048002E 00028542
	v_add3_u32 v16, v66, v19, 1                                // 0000000086D8: D1FF0010 02062742
	v_cndmask_b32_e64 v4, v16, v18, s[46:47]                   // 0000000086E0: D1000004 00BA2510
	v_cmp_u_f32_e64 s[46:47], v67, v67                         // 0000000086E8: D048002E 00028743
	v_add3_u32 v16, v67, v19, 1                                // 0000000086F0: D1FF0010 02062743
	v_cndmask_b32_e64 v5, v16, v18, s[46:47]                   // 0000000086F8: D1000005 00BA2510
	v_perm_b32 v59, v5, v4, s52                                // 000000008700: D1ED003B 00D20905
	v_cmp_u_f32_e64 s[46:47], v68, v68                         // 000000008708: D048002E 00028944
	v_add3_u32 v16, v68, v19, 1                                // 000000008710: D1FF0010 02062744
	v_cndmask_b32_e64 v4, v16, v18, s[46:47]                   // 000000008718: D1000004 00BA2510
	v_cmp_u_f32_e64 s[46:47], v69, v69                         // 000000008720: D048002E 00028B45
	v_add3_u32 v16, v69, v19, 1                                // 000000008728: D1FF0010 02062745
	v_cndmask_b32_e64 v5, v16, v18, s[46:47]                   // 000000008730: D1000005 00BA2510
	v_perm_b32 v60, v5, v4, s52                                // 000000008738: D1ED003C 00D20905
	v_cmp_u_f32_e64 s[46:47], v70, v70                         // 000000008740: D048002E 00028D46
	v_add3_u32 v16, v70, v19, 1                                // 000000008748: D1FF0010 02062746
	v_cndmask_b32_e64 v4, v16, v18, s[46:47]                   // 000000008750: D1000004 00BA2510
	v_cmp_u_f32_e64 s[46:47], v71, v71                         // 000000008758: D048002E 00028F47
	v_add3_u32 v16, v71, v19, 1                                // 000000008760: D1FF0010 02062747
	v_cndmask_b32_e64 v5, v16, v18, s[46:47]                   // 000000008768: D1000005 00BA2510
	v_perm_b32 v61, v5, v4, s52                                // 000000008770: D1ED003D 00D20905
	v_cmp_u_f32_e64 s[46:47], v72, v72                         // 000000008778: D048002E 00029148
	v_add3_u32 v16, v72, v19, 1                                // 000000008780: D1FF0010 02062748
	v_cndmask_b32_e64 v4, v16, v18, s[46:47]                   // 000000008788: D1000004 00BA2510
	v_cmp_u_f32_e64 s[46:47], v73, v73                         // 000000008790: D048002E 00029349
	v_add3_u32 v16, v73, v19, 1                                // 000000008798: D1FF0010 02062749
	v_cndmask_b32_e64 v5, v16, v18, s[46:47]                   // 0000000087A0: D1000005 00BA2510
	v_perm_b32 v62, v5, v4, s52                                // 0000000087A8: D1ED003E 00D20905
	v_cmp_u_f32_e64 s[46:47], v74, v74                         // 0000000087B0: D048002E 0002954A
	v_add3_u32 v16, v74, v19, 1                                // 0000000087B8: D1FF0010 0206274A
	v_cndmask_b32_e64 v4, v16, v18, s[46:47]                   // 0000000087C0: D1000004 00BA2510
	v_cmp_u_f32_e64 s[46:47], v75, v75                         // 0000000087C8: D048002E 0002974B
	v_add3_u32 v16, v75, v19, 1                                // 0000000087D0: D1FF0010 0206274B
	v_cndmask_b32_e64 v5, v16, v18, s[46:47]                   // 0000000087D8: D1000005 00BA2510
	v_perm_b32 v63, v5, v4, s52                                // 0000000087E0: D1ED003F 00D20905
	v_cmp_u_f32_e64 s[46:47], v76, v76                         // 0000000087E8: D048002E 0002994C
	v_add3_u32 v16, v76, v19, 1                                // 0000000087F0: D1FF0010 0206274C
	v_cndmask_b32_e64 v4, v16, v18, s[46:47]                   // 0000000087F8: D1000004 00BA2510
	v_cmp_u_f32_e64 s[46:47], v77, v77                         // 000000008800: D048002E 00029B4D
	v_add3_u32 v16, v77, v19, 1                                // 000000008808: D1FF0010 0206274D
	v_cndmask_b32_e64 v5, v16, v18, s[46:47]                   // 000000008810: D1000005 00BA2510
	v_perm_b32 v64, v5, v4, s52                                // 000000008818: D1ED0040 00D20905
	v_cmp_u_f32_e64 s[46:47], v78, v78                         // 000000008820: D048002E 00029D4E
	v_add3_u32 v16, v78, v19, 1                                // 000000008828: D1FF0010 0206274E
	v_cndmask_b32_e64 v4, v16, v18, s[46:47]                   // 000000008830: D1000004 00BA2510
	v_cmp_u_f32_e64 s[46:47], v79, v79                         // 000000008838: D048002E 00029F4F
	v_add3_u32 v16, v79, v19, 1                                // 000000008840: D1FF0010 0206274F
	v_cndmask_b32_e64 v5, v16, v18, s[46:47]                   // 000000008848: D1000005 00BA2510
	v_perm_b32 v65, v5, v4, s52                                // 000000008850: D1ED0041 00D20905
	v_cmp_u_f32_e64 s[46:47], v80, v80                         // 000000008858: D048002E 0002A150
	v_add3_u32 v16, v80, v19, 1                                // 000000008860: D1FF0010 02062750
	v_cndmask_b32_e64 v4, v16, v18, s[46:47]                   // 000000008868: D1000004 00BA2510
	v_cmp_u_f32_e64 s[46:47], v81, v81                         // 000000008870: D048002E 0002A351
	v_add3_u32 v16, v81, v19, 1                                // 000000008878: D1FF0010 02062751
	v_cndmask_b32_e64 v5, v16, v18, s[46:47]                   // 000000008880: D1000005 00BA2510
	v_perm_b32 v66, v5, v4, s52                                // 000000008888: D1ED0042 00D20905
	v_cmp_u_f32_e64 s[46:47], v82, v82                         // 000000008890: D048002E 0002A552
	v_add3_u32 v16, v82, v19, 1                                // 000000008898: D1FF0010 02062752
	v_cndmask_b32_e64 v4, v16, v18, s[46:47]                   // 0000000088A0: D1000004 00BA2510
	v_cmp_u_f32_e64 s[46:47], v83, v83                         // 0000000088A8: D048002E 0002A753
	v_add3_u32 v16, v83, v19, 1                                // 0000000088B0: D1FF0010 02062753
	v_cndmask_b32_e64 v5, v16, v18, s[46:47]                   // 0000000088B8: D1000005 00BA2510
	v_perm_b32 v67, v5, v4, s52                                // 0000000088C0: D1ED0043 00D20905
	v_cmp_u_f32_e64 s[46:47], v84, v84                         // 0000000088C8: D048002E 0002A954
	v_add3_u32 v16, v84, v19, 1                                // 0000000088D0: D1FF0010 02062754
	v_cndmask_b32_e64 v4, v16, v18, s[46:47]                   // 0000000088D8: D1000004 00BA2510
	v_cmp_u_f32_e64 s[46:47], v85, v85                         // 0000000088E0: D048002E 0002AB55
	v_add3_u32 v16, v85, v19, 1                                // 0000000088E8: D1FF0010 02062755
	v_cndmask_b32_e64 v5, v16, v18, s[46:47]                   // 0000000088F0: D1000005 00BA2510
	v_perm_b32 v68, v5, v4, s52                                // 0000000088F8: D1ED0044 00D20905
	v_cmp_u_f32_e64 s[46:47], v86, v86                         // 000000008900: D048002E 0002AD56
	v_add3_u32 v16, v86, v19, 1                                // 000000008908: D1FF0010 02062756
	v_cndmask_b32_e64 v4, v16, v18, s[46:47]                   // 000000008910: D1000004 00BA2510
	v_cmp_u_f32_e64 s[46:47], v87, v87                         // 000000008918: D048002E 0002AF57
	v_add3_u32 v16, v87, v19, 1                                // 000000008920: D1FF0010 02062757
	v_cndmask_b32_e64 v5, v16, v18, s[46:47]                   // 000000008928: D1000005 00BA2510
	v_perm_b32 v69, v5, v4, s52                                // 000000008930: D1ED0045 00D20905
	v_cmp_u_f32_e64 s[46:47], v88, v88                         // 000000008938: D048002E 0002B158
	v_add3_u32 v16, v88, v19, 1                                // 000000008940: D1FF0010 02062758
	v_cndmask_b32_e64 v4, v16, v18, s[46:47]                   // 000000008948: D1000004 00BA2510
	v_cmp_u_f32_e64 s[46:47], v89, v89                         // 000000008950: D048002E 0002B359
	v_add3_u32 v16, v89, v19, 1                                // 000000008958: D1FF0010 02062759
	v_cndmask_b32_e64 v5, v16, v18, s[46:47]                   // 000000008960: D1000005 00BA2510
	v_perm_b32 v70, v5, v4, s52                                // 000000008968: D1ED0046 00D20905
	v_cmp_u_f32_e64 s[46:47], v90, v90                         // 000000008970: D048002E 0002B55A
	v_add3_u32 v16, v90, v19, 1                                // 000000008978: D1FF0010 0206275A
	v_cndmask_b32_e64 v4, v16, v18, s[46:47]                   // 000000008980: D1000004 00BA2510
	v_cmp_u_f32_e64 s[46:47], v91, v91                         // 000000008988: D048002E 0002B75B
	v_add3_u32 v16, v91, v19, 1                                // 000000008990: D1FF0010 0206275B
	v_cndmask_b32_e64 v5, v16, v18, s[46:47]                   // 000000008998: D1000005 00BA2510
	v_perm_b32 v71, v5, v4, s52                                // 0000000089A0: D1ED0047 00D20905
	v_cmp_u_f32_e64 s[46:47], v92, v92                         // 0000000089A8: D048002E 0002B95C
	v_add3_u32 v16, v92, v19, 1                                // 0000000089B0: D1FF0010 0206275C
	v_cndmask_b32_e64 v4, v16, v18, s[46:47]                   // 0000000089B8: D1000004 00BA2510
	v_cmp_u_f32_e64 s[46:47], v93, v93                         // 0000000089C0: D048002E 0002BB5D
	v_add3_u32 v16, v93, v19, 1                                // 0000000089C8: D1FF0010 0206275D
	v_cndmask_b32_e64 v5, v16, v18, s[46:47]                   // 0000000089D0: D1000005 00BA2510
	v_perm_b32 v72, v5, v4, s52                                // 0000000089D8: D1ED0048 00D20905
	v_cmp_u_f32_e64 s[46:47], v94, v94                         // 0000000089E0: D048002E 0002BD5E
	v_add3_u32 v16, v94, v19, 1                                // 0000000089E8: D1FF0010 0206275E
	v_cndmask_b32_e64 v4, v16, v18, s[46:47]                   // 0000000089F0: D1000004 00BA2510
	v_cmp_u_f32_e64 s[46:47], v95, v95                         // 0000000089F8: D048002E 0002BF5F
	v_add3_u32 v16, v95, v19, 1                                // 000000008A00: D1FF0010 0206275F
	v_cndmask_b32_e64 v5, v16, v18, s[46:47]                   // 000000008A08: D1000005 00BA2510
	v_perm_b32 v73, v5, v4, s52                                // 000000008A10: D1ED0049 00D20905
	v_cmp_u_f32_e64 s[46:47], v96, v96                         // 000000008A18: D048002E 0002C160
	v_add3_u32 v16, v96, v19, 1                                // 000000008A20: D1FF0010 02062760
	v_cndmask_b32_e64 v4, v16, v18, s[46:47]                   // 000000008A28: D1000004 00BA2510
	v_cmp_u_f32_e64 s[46:47], v97, v97                         // 000000008A30: D048002E 0002C361
	v_add3_u32 v16, v97, v19, 1                                // 000000008A38: D1FF0010 02062761
	v_cndmask_b32_e64 v5, v16, v18, s[46:47]                   // 000000008A40: D1000005 00BA2510
	v_perm_b32 v74, v5, v4, s52                                // 000000008A48: D1ED004A 00D20905
	v_cmp_u_f32_e64 s[46:47], v98, v98                         // 000000008A50: D048002E 0002C562
	v_add3_u32 v16, v98, v19, 1                                // 000000008A58: D1FF0010 02062762
	v_cndmask_b32_e64 v4, v16, v18, s[46:47]                   // 000000008A60: D1000004 00BA2510
	v_cmp_u_f32_e64 s[46:47], v99, v99                         // 000000008A68: D048002E 0002C763
	v_add3_u32 v16, v99, v19, 1                                // 000000008A70: D1FF0010 02062763
	v_cndmask_b32_e64 v5, v16, v18, s[46:47]                   // 000000008A78: D1000005 00BA2510
	v_perm_b32 v75, v5, v4, s52                                // 000000008A80: D1ED004B 00D20905
	ds_write_b64 v20, v[52:53]                                 // 000000008A88: D89A0000 00003414
	ds_write_b64 v20, v[54:55] offset:8704                     // 000000008A90: D89A2200 00003614
	ds_write_b64 v20, v[56:57] offset:17408                    // 000000008A98: D89A4400 00003814
	ds_write_b64 v20, v[58:59] offset:2176                     // 000000008AA0: D89A0880 00003A14
	ds_write_b64 v20, v[60:61] offset:10880                    // 000000008AA8: D89A2A80 00003C14
	ds_write_b64 v20, v[62:63] offset:19584                    // 000000008AB0: D89A4C80 00003E14
	ds_write_b64 v20, v[64:65] offset:4352                     // 000000008AB8: D89A1100 00004014
	ds_write_b64 v20, v[66:67] offset:13056                    // 000000008AC0: D89A3300 00004214
	ds_write_b64 v20, v[68:69] offset:21760                    // 000000008AC8: D89A5500 00004414
	ds_write_b64 v20, v[70:71] offset:6528                     // 000000008AD0: D89A1980 00004614
	ds_write_b64 v20, v[72:73] offset:15232                    // 000000008AD8: D89A3B80 00004814
	ds_write_b64 v20, v[74:75] offset:23936                    // 000000008AE0: D89A5D80 00004A14
	v_lshrrev_b32_e32 v4, 5, v0                                // 000000008AE8: 20080085
	v_xor_b32_e32 v5, 1, v4                                    // 000000008AEC: 2A0A0881
	s_mul_i32 s60, s65, 2                                      // 000000008AF0: 923C8241
	s_cmp_eq_u32 s88, 0                                        // 000000008AF4: BF068058
	s_cselect_b32 s61, 1, 4                                    // 000000008AF8: 853D8481
	s_mul_i32 s60, s61, s60                                    // 000000008AFC: 923C3C3D
	v_readlane_b32 s82, v3, 0                                  // 000000008B00: D2890052 00010103
	s_lshr_b32 s61, s82, 24                                    // 000000008B08: 8F3D9852
	s_and_b32 s82, s82, 0xffffff                               // 000000008B0C: 8652FF52 00FFFFFF
	s_mul_i32 s82, s82, s71                                    // 000000008B14: 92524752
	s_mul_i32 s61, s60, s61                                    // 000000008B18: 923D3D3C
	s_add_u32 s82, s82, s61                                    // 000000008B1C: 80523D52
	v_mul_lo_u32 v6, v5, s82                                   // 000000008B20: D2850006 0000A505
	v_readlane_b32 s82, v3, 1                                  // 000000008B28: D2890052 00010303
	s_lshr_b32 s61, s82, 24                                    // 000000008B30: 8F3D9852
	s_and_b32 s82, s82, 0xffffff                               // 000000008B34: 8652FF52 00FFFFFF
	s_mul_i32 s82, s82, s71                                    // 000000008B3C: 92524752
	s_mul_i32 s61, s60, s61                                    // 000000008B40: 923D3D3C
	s_add_u32 s82, s82, s61                                    // 000000008B44: 80523D52
	v_mul_lo_u32 v7, v4, s82                                   // 000000008B48: D2850007 0000A504
	v_add_u32_e32 v40, v6, v7                                  // 000000008B50: 68500F06
	v_readlane_b32 s82, v3, 2                                  // 000000008B54: D2890052 00010503
	s_lshr_b32 s61, s82, 24                                    // 000000008B5C: 8F3D9852
	s_and_b32 s82, s82, 0xffffff                               // 000000008B60: 8652FF52 00FFFFFF
	s_mul_i32 s82, s82, s71                                    // 000000008B68: 92524752
	s_mul_i32 s61, s60, s61                                    // 000000008B6C: 923D3D3C
	s_add_u32 s82, s82, s61                                    // 000000008B70: 80523D52
	v_mul_lo_u32 v6, v5, s82                                   // 000000008B74: D2850006 0000A505
	v_readlane_b32 s82, v3, 3                                  // 000000008B7C: D2890052 00010703
	s_lshr_b32 s61, s82, 24                                    // 000000008B84: 8F3D9852
	s_and_b32 s82, s82, 0xffffff                               // 000000008B88: 8652FF52 00FFFFFF
	s_mul_i32 s82, s82, s71                                    // 000000008B90: 92524752
	s_mul_i32 s61, s60, s61                                    // 000000008B94: 923D3D3C
	s_add_u32 s82, s82, s61                                    // 000000008B98: 80523D52
	v_mul_lo_u32 v7, v4, s82                                   // 000000008B9C: D2850007 0000A504
	v_add_u32_e32 v41, v6, v7                                  // 000000008BA4: 68520F06
	v_readlane_b32 s82, v3, 4                                  // 000000008BA8: D2890052 00010903
	s_lshr_b32 s61, s82, 24                                    // 000000008BB0: 8F3D9852
	s_and_b32 s82, s82, 0xffffff                               // 000000008BB4: 8652FF52 00FFFFFF
	s_mul_i32 s82, s82, s71                                    // 000000008BBC: 92524752
	s_mul_i32 s61, s60, s61                                    // 000000008BC0: 923D3D3C
	s_add_u32 s82, s82, s61                                    // 000000008BC4: 80523D52
	v_mul_lo_u32 v6, v5, s82                                   // 000000008BC8: D2850006 0000A505
	v_readlane_b32 s82, v3, 5                                  // 000000008BD0: D2890052 00010B03
	s_lshr_b32 s61, s82, 24                                    // 000000008BD8: 8F3D9852
	s_and_b32 s82, s82, 0xffffff                               // 000000008BDC: 8652FF52 00FFFFFF
	s_mul_i32 s82, s82, s71                                    // 000000008BE4: 92524752
	s_mul_i32 s61, s60, s61                                    // 000000008BE8: 923D3D3C
	s_add_u32 s82, s82, s61                                    // 000000008BEC: 80523D52
	v_mul_lo_u32 v7, v4, s82                                   // 000000008BF0: D2850007 0000A504
	v_add_u32_e32 v42, v6, v7                                  // 000000008BF8: 68540F06
	v_readlane_b32 s82, v3, 6                                  // 000000008BFC: D2890052 00010D03
	s_lshr_b32 s61, s82, 24                                    // 000000008C04: 8F3D9852
	s_and_b32 s82, s82, 0xffffff                               // 000000008C08: 8652FF52 00FFFFFF
	s_mul_i32 s82, s82, s71                                    // 000000008C10: 92524752
	s_mul_i32 s61, s60, s61                                    // 000000008C14: 923D3D3C
	s_add_u32 s82, s82, s61                                    // 000000008C18: 80523D52
	v_mul_lo_u32 v6, v5, s82                                   // 000000008C1C: D2850006 0000A505
	v_readlane_b32 s82, v3, 7                                  // 000000008C24: D2890052 00010F03
	s_lshr_b32 s61, s82, 24                                    // 000000008C2C: 8F3D9852
	s_and_b32 s82, s82, 0xffffff                               // 000000008C30: 8652FF52 00FFFFFF
	s_mul_i32 s82, s82, s71                                    // 000000008C38: 92524752
	s_mul_i32 s61, s60, s61                                    // 000000008C3C: 923D3D3C
	s_add_u32 s82, s82, s61                                    // 000000008C40: 80523D52
	v_mul_lo_u32 v7, v4, s82                                   // 000000008C44: D2850007 0000A504
	v_add_u32_e32 v43, v6, v7                                  // 000000008C4C: 68560F06
	v_readlane_b32 s82, v3, 8                                  // 000000008C50: D2890052 00011103
	s_lshr_b32 s61, s82, 24                                    // 000000008C58: 8F3D9852
	s_and_b32 s82, s82, 0xffffff                               // 000000008C5C: 8652FF52 00FFFFFF
	s_mul_i32 s82, s82, s71                                    // 000000008C64: 92524752
	s_mul_i32 s61, s60, s61                                    // 000000008C68: 923D3D3C
	s_add_u32 s82, s82, s61                                    // 000000008C6C: 80523D52
	v_mul_lo_u32 v6, v5, s82                                   // 000000008C70: D2850006 0000A505
	v_readlane_b32 s82, v3, 9                                  // 000000008C78: D2890052 00011303
	s_lshr_b32 s61, s82, 24                                    // 000000008C80: 8F3D9852
	s_and_b32 s82, s82, 0xffffff                               // 000000008C84: 8652FF52 00FFFFFF
	s_mul_i32 s82, s82, s71                                    // 000000008C8C: 92524752
	s_mul_i32 s61, s60, s61                                    // 000000008C90: 923D3D3C
	s_add_u32 s82, s82, s61                                    // 000000008C94: 80523D52
	v_mul_lo_u32 v7, v4, s82                                   // 000000008C98: D2850007 0000A504
	v_add_u32_e32 v44, v6, v7                                  // 000000008CA0: 68580F06
	v_readlane_b32 s82, v3, 10                                 // 000000008CA4: D2890052 00011503
	s_lshr_b32 s61, s82, 24                                    // 000000008CAC: 8F3D9852
	s_and_b32 s82, s82, 0xffffff                               // 000000008CB0: 8652FF52 00FFFFFF
	s_mul_i32 s82, s82, s71                                    // 000000008CB8: 92524752
	s_mul_i32 s61, s60, s61                                    // 000000008CBC: 923D3D3C
	s_add_u32 s82, s82, s61                                    // 000000008CC0: 80523D52
	v_mul_lo_u32 v6, v5, s82                                   // 000000008CC4: D2850006 0000A505
	v_readlane_b32 s82, v3, 11                                 // 000000008CCC: D2890052 00011703
	s_lshr_b32 s61, s82, 24                                    // 000000008CD4: 8F3D9852
	s_and_b32 s82, s82, 0xffffff                               // 000000008CD8: 8652FF52 00FFFFFF
	s_mul_i32 s82, s82, s71                                    // 000000008CE0: 92524752
	s_mul_i32 s61, s60, s61                                    // 000000008CE4: 923D3D3C
	s_add_u32 s82, s82, s61                                    // 000000008CE8: 80523D52
	v_mul_lo_u32 v7, v4, s82                                   // 000000008CEC: D2850007 0000A504
	v_add_u32_e32 v45, v6, v7                                  // 000000008CF4: 685A0F06
	v_and_b32_e32 v4, 31, v0                                   // 000000008CF8: 2608009F
	v_lshrrev_b32_e32 v4, 1, v4                                // 000000008CFC: 20080881
	s_cmp_eq_u32 s88, 0                                        // 000000008D00: BF068058
	s_cselect_b32 s61, 2, 4                                    // 000000008D04: 853D8482
	v_mul_lo_u32 v4, v4, s61                                   // 000000008D08: D2850004 00007B04
	v_and_b32_e64 v5, v0, 1                                    // 000000008D10: D1130005 00010300
	v_add_u32_e32 v4, v4, v5                                   // 000000008D18: 68080B04
	v_lshlrev_b32_e32 v4, 2, v4                                // 000000008D1C: 24080882
	v_add_u32_e32 v40, v40, v4                                 // 000000008D20: 68500928
	v_add_u32_e32 v41, v41, v4                                 // 000000008D24: 68520929
	v_add_u32_e32 v42, v42, v4                                 // 000000008D28: 6854092A
	v_add_u32_e32 v43, v43, v4                                 // 000000008D2C: 6856092B
	v_add_u32_e32 v44, v44, v4                                 // 000000008D30: 6858092C
	v_add_u32_e32 v45, v45, v4                                 // 000000008D34: 685A092D
	s_waitcnt lgkmcnt(0)                                       // 000000008D38: BF8CC07F
	s_barrier                                                  // 000000008D3C: BF8A0000
	ds_read_b32 v52, v21                                       // 000000008D40: D86C0000 34000015
	ds_read_b32 v53, v21 offset:64                             // 000000008D48: D86C0040 35000015
	ds_read_b32 v54, v21 offset:2176                           // 000000008D50: D86C0880 36000015
	ds_read_b32 v55, v21 offset:2240                           // 000000008D58: D86C08C0 37000015
	ds_read_b32 v56, v21 offset:4352                           // 000000008D60: D86C1100 38000015
	ds_read_b32 v57, v21 offset:4416                           // 000000008D68: D86C1140 39000015
	ds_read_b32 v58, v21 offset:6528                           // 000000008D70: D86C1980 3A000015
	ds_read_b32 v59, v21 offset:6592                           // 000000008D78: D86C19C0 3B000015
	ds_read_b32 v60, v21 offset:8704                           // 000000008D80: D86C2200 3C000015
	ds_read_b32 v61, v21 offset:8768                           // 000000008D88: D86C2240 3D000015
	ds_read_b32 v62, v21 offset:10880                          // 000000008D90: D86C2A80 3E000015
	ds_read_b32 v63, v21 offset:10944                          // 000000008D98: D86C2AC0 3F000015
	ds_read_b32 v64, v21 offset:13056                          // 000000008DA0: D86C3300 40000015
	ds_read_b32 v65, v21 offset:13120                          // 000000008DA8: D86C3340 41000015
	ds_read_b32 v66, v21 offset:15232                          // 000000008DB0: D86C3B80 42000015
	ds_read_b32 v67, v21 offset:15296                          // 000000008DB8: D86C3BC0 43000015
	ds_read_b32 v68, v21 offset:17408                          // 000000008DC0: D86C4400 44000015
	ds_read_b32 v69, v21 offset:17472                          // 000000008DC8: D86C4440 45000015
	ds_read_b32 v70, v21 offset:19584                          // 000000008DD0: D86C4C80 46000015
	ds_read_b32 v71, v21 offset:19648                          // 000000008DD8: D86C4CC0 47000015
	ds_read_b32 v72, v21 offset:21760                          // 000000008DE0: D86C5500 48000015
	ds_read_b32 v73, v21 offset:21824                          // 000000008DE8: D86C5540 49000015
	ds_read_b32 v74, v21 offset:23936                          // 000000008DF0: D86C5D80 4A000015
	ds_read_b32 v75, v21 offset:24000                          // 000000008DF8: D86C5DC0 4B000015
	s_waitcnt lgkmcnt(0)                                       // 000000008E00: BF8CC07F
	s_mov_b32 s36, -1                                          // 000000008E04: BEA400C1
	s_mov_b32 s37, -1                                          // 000000008E08: BEA500C1
	v_mov_b32_e32 v7, 0                                        // 000000008E0C: 7E0E0280
	s_or_b32 s9, s9, 0x40000                                   // 000000008E10: 8709FF09 00040000
	s_mov_b64 exec, s[36:37]                                   // 000000008E18: BEFE0124
	v_mov_b32_e32 v6, v40                                      // 000000008E1C: 7E0C0328
	s_mov_b64 s[60:61], 0                                      // 000000008E20: BEBC0180
	v_readlane_b32 s82, v3, 0                                  // 000000008E24: D2890052 00010103
	s_and_b32 s82, s82, 0xffffff                               // 000000008E2C: 8652FF52 00FFFFFF
	s_cmp_lt_u32 s82, s66                                      // 000000008E34: BF0A4252
	s_cselect_b32 s20, s36, s60                                // 000000008E38: 85143C24
	v_readlane_b32 s82, v3, 1                                  // 000000008E3C: D2890052 00010303
	s_and_b32 s82, s82, 0xffffff                               // 000000008E44: 8652FF52 00FFFFFF
	s_cmp_lt_u32 s82, s66                                      // 000000008E4C: BF0A4252
	s_cselect_b32 s21, s36, s60                                // 000000008E50: 85153C24
	s_mov_b64 exec, s[20:21]                                   // 000000008E54: BEFE0114
	buffer_store_dword v52, v6, s[8:11], 0 offen               // 000000008E58: E0701000 80023406
	buffer_store_dword v54, v6, s[8:11], 0 offen offset:128    // 000000008E60: E0701080 80023606
	buffer_store_dword v56, v6, s[8:11], 0 offen offset:256    // 000000008E68: E0701100 80023806
	buffer_store_dword v58, v6, s[8:11], 0 offen offset:384    // 000000008E70: E0701180 80023A06
	s_mov_b64 exec, s[36:37]                                   // 000000008E78: BEFE0124
	v_mov_b32_e32 v6, v41                                      // 000000008E7C: 7E0C0329
	s_mov_b64 s[60:61], 0                                      // 000000008E80: BEBC0180
	v_readlane_b32 s82, v3, 2                                  // 000000008E84: D2890052 00010503
	s_and_b32 s82, s82, 0xffffff                               // 000000008E8C: 8652FF52 00FFFFFF
	s_cmp_lt_u32 s82, s66                                      // 000000008E94: BF0A4252
	s_cselect_b32 s20, s36, s60                                // 000000008E98: 85143C24
	v_readlane_b32 s82, v3, 3                                  // 000000008E9C: D2890052 00010703
	s_and_b32 s82, s82, 0xffffff                               // 000000008EA4: 8652FF52 00FFFFFF
	s_cmp_lt_u32 s82, s66                                      // 000000008EAC: BF0A4252
	s_cselect_b32 s21, s36, s60                                // 000000008EB0: 85153C24
	s_mov_b64 exec, s[20:21]                                   // 000000008EB4: BEFE0114
	buffer_store_dword v53, v6, s[8:11], 0 offen               // 000000008EB8: E0701000 80023506
	buffer_store_dword v55, v6, s[8:11], 0 offen offset:128    // 000000008EC0: E0701080 80023706
	buffer_store_dword v57, v6, s[8:11], 0 offen offset:256    // 000000008EC8: E0701100 80023906
	buffer_store_dword v59, v6, s[8:11], 0 offen offset:384    // 000000008ED0: E0701180 80023B06
	s_mov_b64 exec, s[36:37]                                   // 000000008ED8: BEFE0124
	v_mov_b32_e32 v6, v42                                      // 000000008EDC: 7E0C032A
	s_mov_b64 s[60:61], 0                                      // 000000008EE0: BEBC0180
	v_readlane_b32 s82, v3, 4                                  // 000000008EE4: D2890052 00010903
	s_and_b32 s82, s82, 0xffffff                               // 000000008EEC: 8652FF52 00FFFFFF
	s_cmp_lt_u32 s82, s66                                      // 000000008EF4: BF0A4252
	s_cselect_b32 s20, s36, s60                                // 000000008EF8: 85143C24
	v_readlane_b32 s82, v3, 5                                  // 000000008EFC: D2890052 00010B03
	s_and_b32 s82, s82, 0xffffff                               // 000000008F04: 8652FF52 00FFFFFF
	s_cmp_lt_u32 s82, s66                                      // 000000008F0C: BF0A4252
	s_cselect_b32 s21, s36, s60                                // 000000008F10: 85153C24
	s_mov_b64 exec, s[20:21]                                   // 000000008F14: BEFE0114
	buffer_store_dword v60, v6, s[8:11], 0 offen               // 000000008F18: E0701000 80023C06
	buffer_store_dword v62, v6, s[8:11], 0 offen offset:128    // 000000008F20: E0701080 80023E06
	buffer_store_dword v64, v6, s[8:11], 0 offen offset:256    // 000000008F28: E0701100 80024006
	buffer_store_dword v66, v6, s[8:11], 0 offen offset:384    // 000000008F30: E0701180 80024206
	s_mov_b64 exec, s[36:37]                                   // 000000008F38: BEFE0124
	v_mov_b32_e32 v6, v43                                      // 000000008F3C: 7E0C032B
	s_mov_b64 s[60:61], 0                                      // 000000008F40: BEBC0180
	v_readlane_b32 s82, v3, 6                                  // 000000008F44: D2890052 00010D03
	s_and_b32 s82, s82, 0xffffff                               // 000000008F4C: 8652FF52 00FFFFFF
	s_cmp_lt_u32 s82, s66                                      // 000000008F54: BF0A4252
	s_cselect_b32 s20, s36, s60                                // 000000008F58: 85143C24
	v_readlane_b32 s82, v3, 7                                  // 000000008F5C: D2890052 00010F03
	s_and_b32 s82, s82, 0xffffff                               // 000000008F64: 8652FF52 00FFFFFF
	s_cmp_lt_u32 s82, s66                                      // 000000008F6C: BF0A4252
	s_cselect_b32 s21, s36, s60                                // 000000008F70: 85153C24
	s_mov_b64 exec, s[20:21]                                   // 000000008F74: BEFE0114
	buffer_store_dword v61, v6, s[8:11], 0 offen               // 000000008F78: E0701000 80023D06
	buffer_store_dword v63, v6, s[8:11], 0 offen offset:128    // 000000008F80: E0701080 80023F06
	buffer_store_dword v65, v6, s[8:11], 0 offen offset:256    // 000000008F88: E0701100 80024106
	buffer_store_dword v67, v6, s[8:11], 0 offen offset:384    // 000000008F90: E0701180 80024306
	s_mov_b64 exec, s[36:37]                                   // 000000008F98: BEFE0124
	v_mov_b32_e32 v6, v44                                      // 000000008F9C: 7E0C032C
	s_mov_b64 s[60:61], 0                                      // 000000008FA0: BEBC0180
	v_readlane_b32 s82, v3, 8                                  // 000000008FA4: D2890052 00011103
	s_and_b32 s82, s82, 0xffffff                               // 000000008FAC: 8652FF52 00FFFFFF
	s_cmp_lt_u32 s82, s66                                      // 000000008FB4: BF0A4252
	s_cselect_b32 s20, s36, s60                                // 000000008FB8: 85143C24
	v_readlane_b32 s82, v3, 9                                  // 000000008FBC: D2890052 00011303
	s_and_b32 s82, s82, 0xffffff                               // 000000008FC4: 8652FF52 00FFFFFF
	s_cmp_lt_u32 s82, s66                                      // 000000008FCC: BF0A4252
	s_cselect_b32 s21, s36, s60                                // 000000008FD0: 85153C24
	s_mov_b64 exec, s[20:21]                                   // 000000008FD4: BEFE0114
	buffer_store_dword v68, v6, s[8:11], 0 offen               // 000000008FD8: E0701000 80024406
	buffer_store_dword v70, v6, s[8:11], 0 offen offset:128    // 000000008FE0: E0701080 80024606
	buffer_store_dword v72, v6, s[8:11], 0 offen offset:256    // 000000008FE8: E0701100 80024806
	buffer_store_dword v74, v6, s[8:11], 0 offen offset:384    // 000000008FF0: E0701180 80024A06
	s_mov_b64 exec, s[36:37]                                   // 000000008FF8: BEFE0124
	v_mov_b32_e32 v6, v45                                      // 000000008FFC: 7E0C032D
	s_mov_b64 s[60:61], 0                                      // 000000009000: BEBC0180
	v_readlane_b32 s82, v3, 10                                 // 000000009004: D2890052 00011503
	s_and_b32 s82, s82, 0xffffff                               // 00000000900C: 8652FF52 00FFFFFF
	s_cmp_lt_u32 s82, s66                                      // 000000009014: BF0A4252
	s_cselect_b32 s20, s36, s60                                // 000000009018: 85143C24
	v_readlane_b32 s82, v3, 11                                 // 00000000901C: D2890052 00011703
	s_and_b32 s82, s82, 0xffffff                               // 000000009024: 8652FF52 00FFFFFF
	s_cmp_lt_u32 s82, s66                                      // 00000000902C: BF0A4252
	s_cselect_b32 s21, s36, s60                                // 000000009030: 85153C24
	s_mov_b64 exec, s[20:21]                                   // 000000009034: BEFE0114
	buffer_store_dword v69, v6, s[8:11], 0 offen               // 000000009038: E0701000 80024506
	buffer_store_dword v71, v6, s[8:11], 0 offen offset:128    // 000000009040: E0701080 80024706
	buffer_store_dword v73, v6, s[8:11], 0 offen offset:256    // 000000009048: E0701100 80024906
	buffer_store_dword v75, v6, s[8:11], 0 offen offset:384    // 000000009050: E0701180 80024B06
	s_mov_b64 exec, s[36:37]                                   // 000000009058: BEFE0124
	s_branch label_1DA9                                        // 00000000905C: BF82040E

0000000000009060 <label_199B>:
	ds_write_b64 v20, v[52:53]                                 // 000000009060: D89A0000 00003414
	ds_write_b64 v20, v[56:57] offset:8704                     // 000000009068: D89A2200 00003814
	ds_write_b64 v20, v[60:61] offset:17408                    // 000000009070: D89A4400 00003C14
	ds_write_b64 v20, v[64:65] offset:2176                     // 000000009078: D89A0880 00004014
	ds_write_b64 v20, v[68:69] offset:10880                    // 000000009080: D89A2A80 00004414
	ds_write_b64 v20, v[72:73] offset:19584                    // 000000009088: D89A4C80 00004814
	ds_write_b64 v20, v[76:77] offset:4352                     // 000000009090: D89A1100 00004C14
	ds_write_b64 v20, v[80:81] offset:13056                    // 000000009098: D89A3300 00005014
	ds_write_b64 v20, v[84:85] offset:21760                    // 0000000090A0: D89A5500 00005414
	ds_write_b64 v20, v[88:89] offset:6528                     // 0000000090A8: D89A1980 00005814
	ds_write_b64 v20, v[92:93] offset:15232                    // 0000000090B0: D89A3B80 00005C14
	ds_write_b64 v20, v[96:97] offset:23936                    // 0000000090B8: D89A5D80 00006014
	v_lshrrev_b32_e32 v4, 5, v0                                // 0000000090C0: 20080085
	v_xor_b32_e32 v5, 1, v4                                    // 0000000090C4: 2A0A0881
	s_mul_i32 s60, s65, 2                                      // 0000000090C8: 923C8241
	s_cmp_eq_u32 s88, 0                                        // 0000000090CC: BF068058
	s_cselect_b32 s61, 1, 4                                    // 0000000090D0: 853D8481
	s_mul_i32 s60, s61, s60                                    // 0000000090D4: 923C3C3D
	v_readlane_b32 s82, v3, 0                                  // 0000000090D8: D2890052 00010103
	s_lshr_b32 s61, s82, 24                                    // 0000000090E0: 8F3D9852
	s_and_b32 s82, s82, 0xffffff                               // 0000000090E4: 8652FF52 00FFFFFF
	s_mul_i32 s82, s82, s71                                    // 0000000090EC: 92524752
	s_mul_i32 s61, s60, s61                                    // 0000000090F0: 923D3D3C
	s_add_u32 s82, s82, s61                                    // 0000000090F4: 80523D52
	v_mul_lo_u32 v6, v5, s82                                   // 0000000090F8: D2850006 0000A505
	v_readlane_b32 s82, v3, 1                                  // 000000009100: D2890052 00010303
	s_lshr_b32 s61, s82, 24                                    // 000000009108: 8F3D9852
	s_and_b32 s82, s82, 0xffffff                               // 00000000910C: 8652FF52 00FFFFFF
	s_mul_i32 s82, s82, s71                                    // 000000009114: 92524752
	s_mul_i32 s61, s60, s61                                    // 000000009118: 923D3D3C
	s_add_u32 s82, s82, s61                                    // 00000000911C: 80523D52
	v_mul_lo_u32 v7, v4, s82                                   // 000000009120: D2850007 0000A504
	v_add_u32_e32 v40, v6, v7                                  // 000000009128: 68500F06
	v_readlane_b32 s82, v3, 2                                  // 00000000912C: D2890052 00010503
	s_lshr_b32 s61, s82, 24                                    // 000000009134: 8F3D9852
	s_and_b32 s82, s82, 0xffffff                               // 000000009138: 8652FF52 00FFFFFF
	s_mul_i32 s82, s82, s71                                    // 000000009140: 92524752
	s_mul_i32 s61, s60, s61                                    // 000000009144: 923D3D3C
	s_add_u32 s82, s82, s61                                    // 000000009148: 80523D52
	v_mul_lo_u32 v6, v5, s82                                   // 00000000914C: D2850006 0000A505
	v_readlane_b32 s82, v3, 3                                  // 000000009154: D2890052 00010703
	s_lshr_b32 s61, s82, 24                                    // 00000000915C: 8F3D9852
	s_and_b32 s82, s82, 0xffffff                               // 000000009160: 8652FF52 00FFFFFF
	s_mul_i32 s82, s82, s71                                    // 000000009168: 92524752
	s_mul_i32 s61, s60, s61                                    // 00000000916C: 923D3D3C
	s_add_u32 s82, s82, s61                                    // 000000009170: 80523D52
	v_mul_lo_u32 v7, v4, s82                                   // 000000009174: D2850007 0000A504
	v_add_u32_e32 v41, v6, v7                                  // 00000000917C: 68520F06
	v_readlane_b32 s82, v3, 4                                  // 000000009180: D2890052 00010903
	s_lshr_b32 s61, s82, 24                                    // 000000009188: 8F3D9852
	s_and_b32 s82, s82, 0xffffff                               // 00000000918C: 8652FF52 00FFFFFF
	s_mul_i32 s82, s82, s71                                    // 000000009194: 92524752
	s_mul_i32 s61, s60, s61                                    // 000000009198: 923D3D3C
	s_add_u32 s82, s82, s61                                    // 00000000919C: 80523D52
	v_mul_lo_u32 v6, v5, s82                                   // 0000000091A0: D2850006 0000A505
	v_readlane_b32 s82, v3, 5                                  // 0000000091A8: D2890052 00010B03
	s_lshr_b32 s61, s82, 24                                    // 0000000091B0: 8F3D9852
	s_and_b32 s82, s82, 0xffffff                               // 0000000091B4: 8652FF52 00FFFFFF
	s_mul_i32 s82, s82, s71                                    // 0000000091BC: 92524752
	s_mul_i32 s61, s60, s61                                    // 0000000091C0: 923D3D3C
	s_add_u32 s82, s82, s61                                    // 0000000091C4: 80523D52
	v_mul_lo_u32 v7, v4, s82                                   // 0000000091C8: D2850007 0000A504
	v_add_u32_e32 v42, v6, v7                                  // 0000000091D0: 68540F06
	v_readlane_b32 s82, v3, 6                                  // 0000000091D4: D2890052 00010D03
	s_lshr_b32 s61, s82, 24                                    // 0000000091DC: 8F3D9852
	s_and_b32 s82, s82, 0xffffff                               // 0000000091E0: 8652FF52 00FFFFFF
	s_mul_i32 s82, s82, s71                                    // 0000000091E8: 92524752
	s_mul_i32 s61, s60, s61                                    // 0000000091EC: 923D3D3C
	s_add_u32 s82, s82, s61                                    // 0000000091F0: 80523D52
	v_mul_lo_u32 v6, v5, s82                                   // 0000000091F4: D2850006 0000A505
	v_readlane_b32 s82, v3, 7                                  // 0000000091FC: D2890052 00010F03
	s_lshr_b32 s61, s82, 24                                    // 000000009204: 8F3D9852
	s_and_b32 s82, s82, 0xffffff                               // 000000009208: 8652FF52 00FFFFFF
	s_mul_i32 s82, s82, s71                                    // 000000009210: 92524752
	s_mul_i32 s61, s60, s61                                    // 000000009214: 923D3D3C
	s_add_u32 s82, s82, s61                                    // 000000009218: 80523D52
	v_mul_lo_u32 v7, v4, s82                                   // 00000000921C: D2850007 0000A504
	v_add_u32_e32 v43, v6, v7                                  // 000000009224: 68560F06
	v_readlane_b32 s82, v3, 8                                  // 000000009228: D2890052 00011103
	s_lshr_b32 s61, s82, 24                                    // 000000009230: 8F3D9852
	s_and_b32 s82, s82, 0xffffff                               // 000000009234: 8652FF52 00FFFFFF
	s_mul_i32 s82, s82, s71                                    // 00000000923C: 92524752
	s_mul_i32 s61, s60, s61                                    // 000000009240: 923D3D3C
	s_add_u32 s82, s82, s61                                    // 000000009244: 80523D52
	v_mul_lo_u32 v6, v5, s82                                   // 000000009248: D2850006 0000A505
	v_readlane_b32 s82, v3, 9                                  // 000000009250: D2890052 00011303
	s_lshr_b32 s61, s82, 24                                    // 000000009258: 8F3D9852
	s_and_b32 s82, s82, 0xffffff                               // 00000000925C: 8652FF52 00FFFFFF
	s_mul_i32 s82, s82, s71                                    // 000000009264: 92524752
	s_mul_i32 s61, s60, s61                                    // 000000009268: 923D3D3C
	s_add_u32 s82, s82, s61                                    // 00000000926C: 80523D52
	v_mul_lo_u32 v7, v4, s82                                   // 000000009270: D2850007 0000A504
	v_add_u32_e32 v44, v6, v7                                  // 000000009278: 68580F06
	v_readlane_b32 s82, v3, 10                                 // 00000000927C: D2890052 00011503
	s_lshr_b32 s61, s82, 24                                    // 000000009284: 8F3D9852
	s_and_b32 s82, s82, 0xffffff                               // 000000009288: 8652FF52 00FFFFFF
	s_mul_i32 s82, s82, s71                                    // 000000009290: 92524752
	s_mul_i32 s61, s60, s61                                    // 000000009294: 923D3D3C
	s_add_u32 s82, s82, s61                                    // 000000009298: 80523D52
	v_mul_lo_u32 v6, v5, s82                                   // 00000000929C: D2850006 0000A505
	v_readlane_b32 s82, v3, 11                                 // 0000000092A4: D2890052 00011703
	s_lshr_b32 s61, s82, 24                                    // 0000000092AC: 8F3D9852
	s_and_b32 s82, s82, 0xffffff                               // 0000000092B0: 8652FF52 00FFFFFF
	s_mul_i32 s82, s82, s71                                    // 0000000092B8: 92524752
	s_mul_i32 s61, s60, s61                                    // 0000000092BC: 923D3D3C
	s_add_u32 s82, s82, s61                                    // 0000000092C0: 80523D52
	v_mul_lo_u32 v7, v4, s82                                   // 0000000092C4: D2850007 0000A504
	v_add_u32_e32 v45, v6, v7                                  // 0000000092CC: 685A0F06
	v_and_b32_e32 v4, 31, v0                                   // 0000000092D0: 2608009F
	v_lshrrev_b32_e32 v4, 1, v4                                // 0000000092D4: 20080881
	s_cmp_eq_u32 s88, 0                                        // 0000000092D8: BF068058
	s_cselect_b32 s61, 2, 4                                    // 0000000092DC: 853D8482
	v_mul_lo_u32 v4, v4, s61                                   // 0000000092E0: D2850004 00007B04
	v_and_b32_e64 v5, v0, 1                                    // 0000000092E8: D1130005 00010300
	v_add_u32_e32 v4, v4, v5                                   // 0000000092F0: 68080B04
	v_lshlrev_b32_e32 v4, 2, v4                                // 0000000092F4: 24080882
	v_add_u32_e32 v40, v40, v4                                 // 0000000092F8: 68500928
	v_add_u32_e32 v41, v41, v4                                 // 0000000092FC: 68520929
	v_add_u32_e32 v42, v42, v4                                 // 000000009300: 6854092A
	v_add_u32_e32 v43, v43, v4                                 // 000000009304: 6856092B
	v_add_u32_e32 v44, v44, v4                                 // 000000009308: 6858092C
	v_add_u32_e32 v45, v45, v4                                 // 00000000930C: 685A092D
	s_waitcnt lgkmcnt(0)                                       // 000000009310: BF8CC07F
	s_barrier                                                  // 000000009314: BF8A0000
	ds_read_b32 v52, v21                                       // 000000009318: D86C0000 34000015
	ds_read_b32 v53, v21 offset:64                             // 000000009320: D86C0040 35000015
	ds_read_b32 v56, v21 offset:2176                           // 000000009328: D86C0880 38000015
	ds_read_b32 v57, v21 offset:2240                           // 000000009330: D86C08C0 39000015
	ds_read_b32 v60, v21 offset:4352                           // 000000009338: D86C1100 3C000015
	ds_read_b32 v61, v21 offset:4416                           // 000000009340: D86C1140 3D000015
	ds_read_b32 v64, v21 offset:6528                           // 000000009348: D86C1980 40000015
	ds_read_b32 v65, v21 offset:6592                           // 000000009350: D86C19C0 41000015
	ds_read_b32 v68, v21 offset:8704                           // 000000009358: D86C2200 44000015
	ds_read_b32 v69, v21 offset:8768                           // 000000009360: D86C2240 45000015
	ds_read_b32 v72, v21 offset:10880                          // 000000009368: D86C2A80 48000015
	ds_read_b32 v73, v21 offset:10944                          // 000000009370: D86C2AC0 49000015
	ds_read_b32 v76, v21 offset:13056                          // 000000009378: D86C3300 4C000015
	ds_read_b32 v77, v21 offset:13120                          // 000000009380: D86C3340 4D000015
	ds_read_b32 v80, v21 offset:15232                          // 000000009388: D86C3B80 50000015
	ds_read_b32 v81, v21 offset:15296                          // 000000009390: D86C3BC0 51000015
	ds_read_b32 v84, v21 offset:17408                          // 000000009398: D86C4400 54000015
	ds_read_b32 v85, v21 offset:17472                          // 0000000093A0: D86C4440 55000015
	ds_read_b32 v88, v21 offset:19584                          // 0000000093A8: D86C4C80 58000015
	ds_read_b32 v89, v21 offset:19648                          // 0000000093B0: D86C4CC0 59000015
	ds_read_b32 v92, v21 offset:21760                          // 0000000093B8: D86C5500 5C000015
	ds_read_b32 v93, v21 offset:21824                          // 0000000093C0: D86C5540 5D000015
	ds_read_b32 v96, v21 offset:23936                          // 0000000093C8: D86C5D80 60000015
	ds_read_b32 v97, v21 offset:24000                          // 0000000093D0: D86C5DC0 61000015
	s_waitcnt lgkmcnt(0)                                       // 0000000093D8: BF8CC07F
	s_mov_b32 s36, -1                                          // 0000000093DC: BEA400C1
	s_mov_b32 s37, -1                                          // 0000000093E0: BEA500C1
	v_mov_b32_e32 v7, 0                                        // 0000000093E4: 7E0E0280
	s_mov_b64 exec, s[36:37]                                   // 0000000093E8: BEFE0124
	v_mov_b32_e32 v6, v40                                      // 0000000093EC: 7E0C0328
	s_mov_b64 s[60:61], 0                                      // 0000000093F0: BEBC0180
	v_readlane_b32 s82, v3, 0                                  // 0000000093F4: D2890052 00010103
	s_and_b32 s82, s82, 0xffffff                               // 0000000093FC: 8652FF52 00FFFFFF
	s_cmp_lt_u32 s82, s66                                      // 000000009404: BF0A4252
	s_cselect_b32 s20, s36, s60                                // 000000009408: 85143C24
	v_readlane_b32 s82, v3, 1                                  // 00000000940C: D2890052 00010303
	s_and_b32 s82, s82, 0xffffff                               // 000000009414: 8652FF52 00FFFFFF
	s_cmp_lt_u32 s82, s66                                      // 00000000941C: BF0A4252
	s_cselect_b32 s21, s36, s60                                // 000000009420: 85153C24
	s_mov_b64 exec, s[20:21]                                   // 000000009424: BEFE0114
	global_atomic_add_f32 v6, v52, s[8:9]                      // 000000009428: DD348000 00083406
	global_atomic_add_f32 v6, v56, s[8:9] offset:256           // 000000009430: DD348100 00083806
	global_atomic_add_f32 v6, v60, s[8:9] offset:512           // 000000009438: DD348200 00083C06
	global_atomic_add_f32 v6, v64, s[8:9] offset:768           // 000000009440: DD348300 00084006
	s_mov_b64 exec, s[36:37]                                   // 000000009448: BEFE0124
	v_mov_b32_e32 v6, v41                                      // 00000000944C: 7E0C0329
	s_mov_b64 s[60:61], 0                                      // 000000009450: BEBC0180
	v_readlane_b32 s82, v3, 2                                  // 000000009454: D2890052 00010503
	s_and_b32 s82, s82, 0xffffff                               // 00000000945C: 8652FF52 00FFFFFF
	s_cmp_lt_u32 s82, s66                                      // 000000009464: BF0A4252
	s_cselect_b32 s20, s36, s60                                // 000000009468: 85143C24
	v_readlane_b32 s82, v3, 3                                  // 00000000946C: D2890052 00010703
	s_and_b32 s82, s82, 0xffffff                               // 000000009474: 8652FF52 00FFFFFF
	s_cmp_lt_u32 s82, s66                                      // 00000000947C: BF0A4252
	s_cselect_b32 s21, s36, s60                                // 000000009480: 85153C24
	s_mov_b64 exec, s[20:21]                                   // 000000009484: BEFE0114
	global_atomic_add_f32 v6, v53, s[8:9]                      // 000000009488: DD348000 00083506
	global_atomic_add_f32 v6, v57, s[8:9] offset:256           // 000000009490: DD348100 00083906
	global_atomic_add_f32 v6, v61, s[8:9] offset:512           // 000000009498: DD348200 00083D06
	global_atomic_add_f32 v6, v65, s[8:9] offset:768           // 0000000094A0: DD348300 00084106
	s_mov_b64 exec, s[36:37]                                   // 0000000094A8: BEFE0124
	v_mov_b32_e32 v6, v42                                      // 0000000094AC: 7E0C032A
	s_mov_b64 s[60:61], 0                                      // 0000000094B0: BEBC0180
	v_readlane_b32 s82, v3, 4                                  // 0000000094B4: D2890052 00010903
	s_and_b32 s82, s82, 0xffffff                               // 0000000094BC: 8652FF52 00FFFFFF
	s_cmp_lt_u32 s82, s66                                      // 0000000094C4: BF0A4252
	s_cselect_b32 s20, s36, s60                                // 0000000094C8: 85143C24
	v_readlane_b32 s82, v3, 5                                  // 0000000094CC: D2890052 00010B03
	s_and_b32 s82, s82, 0xffffff                               // 0000000094D4: 8652FF52 00FFFFFF
	s_cmp_lt_u32 s82, s66                                      // 0000000094DC: BF0A4252
	s_cselect_b32 s21, s36, s60                                // 0000000094E0: 85153C24
	s_mov_b64 exec, s[20:21]                                   // 0000000094E4: BEFE0114
	global_atomic_add_f32 v6, v68, s[8:9]                      // 0000000094E8: DD348000 00084406
	global_atomic_add_f32 v6, v72, s[8:9] offset:256           // 0000000094F0: DD348100 00084806
	global_atomic_add_f32 v6, v76, s[8:9] offset:512           // 0000000094F8: DD348200 00084C06
	global_atomic_add_f32 v6, v80, s[8:9] offset:768           // 000000009500: DD348300 00085006
	s_mov_b64 exec, s[36:37]                                   // 000000009508: BEFE0124
	v_mov_b32_e32 v6, v43                                      // 00000000950C: 7E0C032B
	s_mov_b64 s[60:61], 0                                      // 000000009510: BEBC0180
	v_readlane_b32 s82, v3, 6                                  // 000000009514: D2890052 00010D03
	s_and_b32 s82, s82, 0xffffff                               // 00000000951C: 8652FF52 00FFFFFF
	s_cmp_lt_u32 s82, s66                                      // 000000009524: BF0A4252
	s_cselect_b32 s20, s36, s60                                // 000000009528: 85143C24
	v_readlane_b32 s82, v3, 7                                  // 00000000952C: D2890052 00010F03
	s_and_b32 s82, s82, 0xffffff                               // 000000009534: 8652FF52 00FFFFFF
	s_cmp_lt_u32 s82, s66                                      // 00000000953C: BF0A4252
	s_cselect_b32 s21, s36, s60                                // 000000009540: 85153C24
	s_mov_b64 exec, s[20:21]                                   // 000000009544: BEFE0114
	global_atomic_add_f32 v6, v69, s[8:9]                      // 000000009548: DD348000 00084506
	global_atomic_add_f32 v6, v73, s[8:9] offset:256           // 000000009550: DD348100 00084906
	global_atomic_add_f32 v6, v77, s[8:9] offset:512           // 000000009558: DD348200 00084D06
	global_atomic_add_f32 v6, v81, s[8:9] offset:768           // 000000009560: DD348300 00085106
	s_mov_b64 exec, s[36:37]                                   // 000000009568: BEFE0124
	v_mov_b32_e32 v6, v44                                      // 00000000956C: 7E0C032C
	s_mov_b64 s[60:61], 0                                      // 000000009570: BEBC0180
	v_readlane_b32 s82, v3, 8                                  // 000000009574: D2890052 00011103
	s_and_b32 s82, s82, 0xffffff                               // 00000000957C: 8652FF52 00FFFFFF
	s_cmp_lt_u32 s82, s66                                      // 000000009584: BF0A4252
	s_cselect_b32 s20, s36, s60                                // 000000009588: 85143C24
	v_readlane_b32 s82, v3, 9                                  // 00000000958C: D2890052 00011303
	s_and_b32 s82, s82, 0xffffff                               // 000000009594: 8652FF52 00FFFFFF
	s_cmp_lt_u32 s82, s66                                      // 00000000959C: BF0A4252
	s_cselect_b32 s21, s36, s60                                // 0000000095A0: 85153C24
	s_mov_b64 exec, s[20:21]                                   // 0000000095A4: BEFE0114
	global_atomic_add_f32 v6, v84, s[8:9]                      // 0000000095A8: DD348000 00085406
	global_atomic_add_f32 v6, v88, s[8:9] offset:256           // 0000000095B0: DD348100 00085806
	global_atomic_add_f32 v6, v92, s[8:9] offset:512           // 0000000095B8: DD348200 00085C06
	global_atomic_add_f32 v6, v96, s[8:9] offset:768           // 0000000095C0: DD348300 00086006
	s_mov_b64 exec, s[36:37]                                   // 0000000095C8: BEFE0124
	v_mov_b32_e32 v6, v45                                      // 0000000095CC: 7E0C032D
	s_mov_b64 s[60:61], 0                                      // 0000000095D0: BEBC0180
	v_readlane_b32 s82, v3, 10                                 // 0000000095D4: D2890052 00011503
	s_and_b32 s82, s82, 0xffffff                               // 0000000095DC: 8652FF52 00FFFFFF
	s_cmp_lt_u32 s82, s66                                      // 0000000095E4: BF0A4252
	s_cselect_b32 s20, s36, s60                                // 0000000095E8: 85143C24
	v_readlane_b32 s82, v3, 11                                 // 0000000095EC: D2890052 00011703
	s_and_b32 s82, s82, 0xffffff                               // 0000000095F4: 8652FF52 00FFFFFF
	s_cmp_lt_u32 s82, s66                                      // 0000000095FC: BF0A4252
	s_cselect_b32 s21, s36, s60                                // 000000009600: 85153C24
	s_mov_b64 exec, s[20:21]                                   // 000000009604: BEFE0114
	global_atomic_add_f32 v6, v85, s[8:9]                      // 000000009608: DD348000 00085506
	global_atomic_add_f32 v6, v89, s[8:9] offset:256           // 000000009610: DD348100 00085906
	global_atomic_add_f32 v6, v93, s[8:9] offset:512           // 000000009618: DD348200 00085D06
	global_atomic_add_f32 v6, v97, s[8:9] offset:768           // 000000009620: DD348300 00086106
	s_mov_b64 exec, s[36:37]                                   // 000000009628: BEFE0124
	ds_write_b64 v20, v[54:55]                                 // 00000000962C: D89A0000 00003614
	ds_write_b64 v20, v[58:59] offset:8704                     // 000000009634: D89A2200 00003A14
	ds_write_b64 v20, v[62:63] offset:17408                    // 00000000963C: D89A4400 00003E14
	ds_write_b64 v20, v[66:67] offset:2176                     // 000000009644: D89A0880 00004214
	ds_write_b64 v20, v[70:71] offset:10880                    // 00000000964C: D89A2A80 00004614
	ds_write_b64 v20, v[74:75] offset:19584                    // 000000009654: D89A4C80 00004A14
	ds_write_b64 v20, v[78:79] offset:4352                     // 00000000965C: D89A1100 00004E14
	ds_write_b64 v20, v[82:83] offset:13056                    // 000000009664: D89A3300 00005214
	ds_write_b64 v20, v[86:87] offset:21760                    // 00000000966C: D89A5500 00005614
	ds_write_b64 v20, v[90:91] offset:6528                     // 000000009674: D89A1980 00005A14
	ds_write_b64 v20, v[94:95] offset:15232                    // 00000000967C: D89A3B80 00005E14
	ds_write_b64 v20, v[98:99] offset:23936                    // 000000009684: D89A5D80 00006214
	s_waitcnt lgkmcnt(0)                                       // 00000000968C: BF8CC07F
	s_barrier                                                  // 000000009690: BF8A0000
	ds_read_b32 v54, v21                                       // 000000009694: D86C0000 36000015
	ds_read_b32 v55, v21 offset:64                             // 00000000969C: D86C0040 37000015
	ds_read_b32 v58, v21 offset:2176                           // 0000000096A4: D86C0880 3A000015
	ds_read_b32 v59, v21 offset:2240                           // 0000000096AC: D86C08C0 3B000015
	ds_read_b32 v62, v21 offset:4352                           // 0000000096B4: D86C1100 3E000015
	ds_read_b32 v63, v21 offset:4416                           // 0000000096BC: D86C1140 3F000015
	ds_read_b32 v66, v21 offset:6528                           // 0000000096C4: D86C1980 42000015
	ds_read_b32 v67, v21 offset:6592                           // 0000000096CC: D86C19C0 43000015
	ds_read_b32 v70, v21 offset:8704                           // 0000000096D4: D86C2200 46000015
	ds_read_b32 v71, v21 offset:8768                           // 0000000096DC: D86C2240 47000015
	ds_read_b32 v74, v21 offset:10880                          // 0000000096E4: D86C2A80 4A000015
	ds_read_b32 v75, v21 offset:10944                          // 0000000096EC: D86C2AC0 4B000015
	ds_read_b32 v78, v21 offset:13056                          // 0000000096F4: D86C3300 4E000015
	ds_read_b32 v79, v21 offset:13120                          // 0000000096FC: D86C3340 4F000015
	ds_read_b32 v82, v21 offset:15232                          // 000000009704: D86C3B80 52000015
	ds_read_b32 v83, v21 offset:15296                          // 00000000970C: D86C3BC0 53000015
	ds_read_b32 v86, v21 offset:17408                          // 000000009714: D86C4400 56000015
	ds_read_b32 v87, v21 offset:17472                          // 00000000971C: D86C4440 57000015
	ds_read_b32 v90, v21 offset:19584                          // 000000009724: D86C4C80 5A000015
	ds_read_b32 v91, v21 offset:19648                          // 00000000972C: D86C4CC0 5B000015
	ds_read_b32 v94, v21 offset:21760                          // 000000009734: D86C5500 5E000015
	ds_read_b32 v95, v21 offset:21824                          // 00000000973C: D86C5540 5F000015
	ds_read_b32 v98, v21 offset:23936                          // 000000009744: D86C5D80 62000015
	ds_read_b32 v99, v21 offset:24000                          // 00000000974C: D86C5DC0 63000015
	s_waitcnt lgkmcnt(0)                                       // 000000009754: BF8CC07F
	v_mov_b32_e32 v7, 0                                        // 000000009758: 7E0E0280
	s_mov_b64 exec, s[36:37]                                   // 00000000975C: BEFE0124
	v_mov_b32_e32 v6, v40                                      // 000000009760: 7E0C0328
	s_mov_b64 s[60:61], 0                                      // 000000009764: BEBC0180
	v_readlane_b32 s82, v3, 0                                  // 000000009768: D2890052 00010103
	s_and_b32 s82, s82, 0xffffff                               // 000000009770: 8652FF52 00FFFFFF
	s_cmp_lt_u32 s82, s66                                      // 000000009778: BF0A4252
	s_cselect_b32 s20, s36, s60                                // 00000000977C: 85143C24
	v_readlane_b32 s82, v3, 1                                  // 000000009780: D2890052 00010303
	s_and_b32 s82, s82, 0xffffff                               // 000000009788: 8652FF52 00FFFFFF
	s_cmp_lt_u32 s82, s66                                      // 000000009790: BF0A4252
	s_cselect_b32 s21, s36, s60                                // 000000009794: 85153C24
	s_mov_b64 exec, s[20:21]                                   // 000000009798: BEFE0114
	global_atomic_add_f32 v6, v54, s[8:9] offset:8             // 00000000979C: DD348008 00083606
	global_atomic_add_f32 v6, v58, s[8:9] offset:264           // 0000000097A4: DD348108 00083A06
	global_atomic_add_f32 v6, v62, s[8:9] offset:520           // 0000000097AC: DD348208 00083E06
	global_atomic_add_f32 v6, v66, s[8:9] offset:776           // 0000000097B4: DD348308 00084206
	s_mov_b64 exec, s[36:37]                                   // 0000000097BC: BEFE0124
	v_mov_b32_e32 v6, v41                                      // 0000000097C0: 7E0C0329
	s_mov_b64 s[60:61], 0                                      // 0000000097C4: BEBC0180
	v_readlane_b32 s82, v3, 2                                  // 0000000097C8: D2890052 00010503
	s_and_b32 s82, s82, 0xffffff                               // 0000000097D0: 8652FF52 00FFFFFF
	s_cmp_lt_u32 s82, s66                                      // 0000000097D8: BF0A4252
	s_cselect_b32 s20, s36, s60                                // 0000000097DC: 85143C24
	v_readlane_b32 s82, v3, 3                                  // 0000000097E0: D2890052 00010703
	s_and_b32 s82, s82, 0xffffff                               // 0000000097E8: 8652FF52 00FFFFFF
	s_cmp_lt_u32 s82, s66                                      // 0000000097F0: BF0A4252
	s_cselect_b32 s21, s36, s60                                // 0000000097F4: 85153C24
	s_mov_b64 exec, s[20:21]                                   // 0000000097F8: BEFE0114
	global_atomic_add_f32 v6, v55, s[8:9] offset:8             // 0000000097FC: DD348008 00083706
	global_atomic_add_f32 v6, v59, s[8:9] offset:264           // 000000009804: DD348108 00083B06
	global_atomic_add_f32 v6, v63, s[8:9] offset:520           // 00000000980C: DD348208 00083F06
	global_atomic_add_f32 v6, v67, s[8:9] offset:776           // 000000009814: DD348308 00084306
	s_mov_b64 exec, s[36:37]                                   // 00000000981C: BEFE0124
	v_mov_b32_e32 v6, v42                                      // 000000009820: 7E0C032A
	s_mov_b64 s[60:61], 0                                      // 000000009824: BEBC0180
	v_readlane_b32 s82, v3, 4                                  // 000000009828: D2890052 00010903
	s_and_b32 s82, s82, 0xffffff                               // 000000009830: 8652FF52 00FFFFFF
	s_cmp_lt_u32 s82, s66                                      // 000000009838: BF0A4252
	s_cselect_b32 s20, s36, s60                                // 00000000983C: 85143C24
	v_readlane_b32 s82, v3, 5                                  // 000000009840: D2890052 00010B03
	s_and_b32 s82, s82, 0xffffff                               // 000000009848: 8652FF52 00FFFFFF
	s_cmp_lt_u32 s82, s66                                      // 000000009850: BF0A4252
	s_cselect_b32 s21, s36, s60                                // 000000009854: 85153C24
	s_mov_b64 exec, s[20:21]                                   // 000000009858: BEFE0114
	global_atomic_add_f32 v6, v70, s[8:9] offset:8             // 00000000985C: DD348008 00084606
	global_atomic_add_f32 v6, v74, s[8:9] offset:264           // 000000009864: DD348108 00084A06
	global_atomic_add_f32 v6, v78, s[8:9] offset:520           // 00000000986C: DD348208 00084E06
	global_atomic_add_f32 v6, v82, s[8:9] offset:776           // 000000009874: DD348308 00085206
	s_mov_b64 exec, s[36:37]                                   // 00000000987C: BEFE0124
	v_mov_b32_e32 v6, v43                                      // 000000009880: 7E0C032B
	s_mov_b64 s[60:61], 0                                      // 000000009884: BEBC0180
	v_readlane_b32 s82, v3, 6                                  // 000000009888: D2890052 00010D03
	s_and_b32 s82, s82, 0xffffff                               // 000000009890: 8652FF52 00FFFFFF
	s_cmp_lt_u32 s82, s66                                      // 000000009898: BF0A4252
	s_cselect_b32 s20, s36, s60                                // 00000000989C: 85143C24
	v_readlane_b32 s82, v3, 7                                  // 0000000098A0: D2890052 00010F03
	s_and_b32 s82, s82, 0xffffff                               // 0000000098A8: 8652FF52 00FFFFFF
	s_cmp_lt_u32 s82, s66                                      // 0000000098B0: BF0A4252
	s_cselect_b32 s21, s36, s60                                // 0000000098B4: 85153C24
	s_mov_b64 exec, s[20:21]                                   // 0000000098B8: BEFE0114
	global_atomic_add_f32 v6, v71, s[8:9] offset:8             // 0000000098BC: DD348008 00084706
	global_atomic_add_f32 v6, v75, s[8:9] offset:264           // 0000000098C4: DD348108 00084B06
	global_atomic_add_f32 v6, v79, s[8:9] offset:520           // 0000000098CC: DD348208 00084F06
	global_atomic_add_f32 v6, v83, s[8:9] offset:776           // 0000000098D4: DD348308 00085306
	s_mov_b64 exec, s[36:37]                                   // 0000000098DC: BEFE0124
	v_mov_b32_e32 v6, v44                                      // 0000000098E0: 7E0C032C
	s_mov_b64 s[60:61], 0                                      // 0000000098E4: BEBC0180
	v_readlane_b32 s82, v3, 8                                  // 0000000098E8: D2890052 00011103
	s_and_b32 s82, s82, 0xffffff                               // 0000000098F0: 8652FF52 00FFFFFF
	s_cmp_lt_u32 s82, s66                                      // 0000000098F8: BF0A4252
	s_cselect_b32 s20, s36, s60                                // 0000000098FC: 85143C24
	v_readlane_b32 s82, v3, 9                                  // 000000009900: D2890052 00011303
	s_and_b32 s82, s82, 0xffffff                               // 000000009908: 8652FF52 00FFFFFF
	s_cmp_lt_u32 s82, s66                                      // 000000009910: BF0A4252
	s_cselect_b32 s21, s36, s60                                // 000000009914: 85153C24
	s_mov_b64 exec, s[20:21]                                   // 000000009918: BEFE0114
	global_atomic_add_f32 v6, v86, s[8:9] offset:8             // 00000000991C: DD348008 00085606
	global_atomic_add_f32 v6, v90, s[8:9] offset:264           // 000000009924: DD348108 00085A06
	global_atomic_add_f32 v6, v94, s[8:9] offset:520           // 00000000992C: DD348208 00085E06
	global_atomic_add_f32 v6, v98, s[8:9] offset:776           // 000000009934: DD348308 00086206
	s_mov_b64 exec, s[36:37]                                   // 00000000993C: BEFE0124
	v_mov_b32_e32 v6, v45                                      // 000000009940: 7E0C032D
	s_mov_b64 s[60:61], 0                                      // 000000009944: BEBC0180
	v_readlane_b32 s82, v3, 10                                 // 000000009948: D2890052 00011503
	s_and_b32 s82, s82, 0xffffff                               // 000000009950: 8652FF52 00FFFFFF
	s_cmp_lt_u32 s82, s66                                      // 000000009958: BF0A4252
	s_cselect_b32 s20, s36, s60                                // 00000000995C: 85143C24
	v_readlane_b32 s82, v3, 11                                 // 000000009960: D2890052 00011703
	s_and_b32 s82, s82, 0xffffff                               // 000000009968: 8652FF52 00FFFFFF
	s_cmp_lt_u32 s82, s66                                      // 000000009970: BF0A4252
	s_cselect_b32 s21, s36, s60                                // 000000009974: 85153C24
	s_mov_b64 exec, s[20:21]                                   // 000000009978: BEFE0114
	global_atomic_add_f32 v6, v87, s[8:9] offset:8             // 00000000997C: DD348008 00085706
	global_atomic_add_f32 v6, v91, s[8:9] offset:264           // 000000009984: DD348108 00085B06
	global_atomic_add_f32 v6, v95, s[8:9] offset:520           // 00000000998C: DD348208 00085F06
	global_atomic_add_f32 v6, v99, s[8:9] offset:776           // 000000009994: DD348308 00086306
	s_mov_b64 exec, s[36:37]                                   // 00000000999C: BEFE0124
	ds_write_b64 v20, v[100:101]                               // 0000000099A0: D89A0000 00006414
	ds_write_b64 v20, v[104:105] offset:8704                   // 0000000099A8: D89A2200 00006814
	ds_write_b64 v20, v[108:109] offset:17408                  // 0000000099B0: D89A4400 00006C14
	ds_write_b64 v20, v[112:113] offset:2176                   // 0000000099B8: D89A0880 00007014
	ds_write_b64 v20, v[116:117] offset:10880                  // 0000000099C0: D89A2A80 00007414
	ds_write_b64 v20, v[120:121] offset:19584                  // 0000000099C8: D89A4C80 00007814
	ds_write_b64 v20, v[124:125] offset:4352                   // 0000000099D0: D89A1100 00007C14
	ds_write_b64 v20, v[128:129] offset:13056                  // 0000000099D8: D89A3300 00008014
	ds_write_b64 v20, v[132:133] offset:21760                  // 0000000099E0: D89A5500 00008414
	ds_write_b64 v20, v[136:137] offset:6528                   // 0000000099E8: D89A1980 00008814
	ds_write_b64 v20, v[140:141] offset:15232                  // 0000000099F0: D89A3B80 00008C14
	ds_write_b64 v20, v[144:145] offset:23936                  // 0000000099F8: D89A5D80 00009014
	s_waitcnt lgkmcnt(0)                                       // 000000009A00: BF8CC07F
	s_barrier                                                  // 000000009A04: BF8A0000
	ds_read_b32 v100, v21                                      // 000000009A08: D86C0000 64000015
	ds_read_b32 v101, v21 offset:64                            // 000000009A10: D86C0040 65000015
	ds_read_b32 v104, v21 offset:2176                          // 000000009A18: D86C0880 68000015
	ds_read_b32 v105, v21 offset:2240                          // 000000009A20: D86C08C0 69000015
	ds_read_b32 v108, v21 offset:4352                          // 000000009A28: D86C1100 6C000015
	ds_read_b32 v109, v21 offset:4416                          // 000000009A30: D86C1140 6D000015
	ds_read_b32 v112, v21 offset:6528                          // 000000009A38: D86C1980 70000015
	ds_read_b32 v113, v21 offset:6592                          // 000000009A40: D86C19C0 71000015
	ds_read_b32 v116, v21 offset:8704                          // 000000009A48: D86C2200 74000015
	ds_read_b32 v117, v21 offset:8768                          // 000000009A50: D86C2240 75000015
	ds_read_b32 v120, v21 offset:10880                         // 000000009A58: D86C2A80 78000015
	ds_read_b32 v121, v21 offset:10944                         // 000000009A60: D86C2AC0 79000015
	ds_read_b32 v124, v21 offset:13056                         // 000000009A68: D86C3300 7C000015
	ds_read_b32 v125, v21 offset:13120                         // 000000009A70: D86C3340 7D000015
	ds_read_b32 v128, v21 offset:15232                         // 000000009A78: D86C3B80 80000015
	ds_read_b32 v129, v21 offset:15296                         // 000000009A80: D86C3BC0 81000015
	ds_read_b32 v132, v21 offset:17408                         // 000000009A88: D86C4400 84000015
	ds_read_b32 v133, v21 offset:17472                         // 000000009A90: D86C4440 85000015
	ds_read_b32 v136, v21 offset:19584                         // 000000009A98: D86C4C80 88000015
	ds_read_b32 v137, v21 offset:19648                         // 000000009AA0: D86C4CC0 89000015
	ds_read_b32 v140, v21 offset:21760                         // 000000009AA8: D86C5500 8C000015
	ds_read_b32 v141, v21 offset:21824                         // 000000009AB0: D86C5540 8D000015
	ds_read_b32 v144, v21 offset:23936                         // 000000009AB8: D86C5D80 90000015
	ds_read_b32 v145, v21 offset:24000                         // 000000009AC0: D86C5DC0 91000015
	s_mul_i32 s60, s65, 4                                      // 000000009AC8: 923C8441
	s_add_u32 s8, s60, s8                                      // 000000009ACC: 8008083C
	s_addc_u32 s9, 0, s9                                       // 000000009AD0: 82090980
	s_waitcnt lgkmcnt(0)                                       // 000000009AD4: BF8CC07F
	v_mov_b32_e32 v7, 0                                        // 000000009AD8: 7E0E0280
	s_mov_b64 exec, s[36:37]                                   // 000000009ADC: BEFE0124
	v_mov_b32_e32 v6, v40                                      // 000000009AE0: 7E0C0328
	s_mov_b64 s[60:61], 0                                      // 000000009AE4: BEBC0180
	v_readlane_b32 s82, v3, 0                                  // 000000009AE8: D2890052 00010103
	s_and_b32 s82, s82, 0xffffff                               // 000000009AF0: 8652FF52 00FFFFFF
	s_cmp_lt_u32 s82, s66                                      // 000000009AF8: BF0A4252
	s_cselect_b32 s20, s36, s60                                // 000000009AFC: 85143C24
	v_readlane_b32 s82, v3, 1                                  // 000000009B00: D2890052 00010303
	s_and_b32 s82, s82, 0xffffff                               // 000000009B08: 8652FF52 00FFFFFF
	s_cmp_lt_u32 s82, s66                                      // 000000009B10: BF0A4252
	s_cselect_b32 s21, s36, s60                                // 000000009B14: 85153C24
	s_mov_b64 exec, s[20:21]                                   // 000000009B18: BEFE0114
	global_atomic_add_f32 v6, v100, s[8:9]                     // 000000009B1C: DD348000 00086406
	global_atomic_add_f32 v6, v104, s[8:9] offset:256          // 000000009B24: DD348100 00086806
	global_atomic_add_f32 v6, v108, s[8:9] offset:512          // 000000009B2C: DD348200 00086C06
	global_atomic_add_f32 v6, v112, s[8:9] offset:768          // 000000009B34: DD348300 00087006
	s_mov_b64 exec, s[36:37]                                   // 000000009B3C: BEFE0124
	v_mov_b32_e32 v6, v41                                      // 000000009B40: 7E0C0329
	s_mov_b64 s[60:61], 0                                      // 000000009B44: BEBC0180
	v_readlane_b32 s82, v3, 2                                  // 000000009B48: D2890052 00010503
	s_and_b32 s82, s82, 0xffffff                               // 000000009B50: 8652FF52 00FFFFFF
	s_cmp_lt_u32 s82, s66                                      // 000000009B58: BF0A4252
	s_cselect_b32 s20, s36, s60                                // 000000009B5C: 85143C24
	v_readlane_b32 s82, v3, 3                                  // 000000009B60: D2890052 00010703
	s_and_b32 s82, s82, 0xffffff                               // 000000009B68: 8652FF52 00FFFFFF
	s_cmp_lt_u32 s82, s66                                      // 000000009B70: BF0A4252
	s_cselect_b32 s21, s36, s60                                // 000000009B74: 85153C24
	s_mov_b64 exec, s[20:21]                                   // 000000009B78: BEFE0114
	global_atomic_add_f32 v6, v101, s[8:9]                     // 000000009B7C: DD348000 00086506
	global_atomic_add_f32 v6, v105, s[8:9] offset:256          // 000000009B84: DD348100 00086906
	global_atomic_add_f32 v6, v109, s[8:9] offset:512          // 000000009B8C: DD348200 00086D06
	global_atomic_add_f32 v6, v113, s[8:9] offset:768          // 000000009B94: DD348300 00087106
	s_mov_b64 exec, s[36:37]                                   // 000000009B9C: BEFE0124
	v_mov_b32_e32 v6, v42                                      // 000000009BA0: 7E0C032A
	s_mov_b64 s[60:61], 0                                      // 000000009BA4: BEBC0180
	v_readlane_b32 s82, v3, 4                                  // 000000009BA8: D2890052 00010903
	s_and_b32 s82, s82, 0xffffff                               // 000000009BB0: 8652FF52 00FFFFFF
	s_cmp_lt_u32 s82, s66                                      // 000000009BB8: BF0A4252
	s_cselect_b32 s20, s36, s60                                // 000000009BBC: 85143C24
	v_readlane_b32 s82, v3, 5                                  // 000000009BC0: D2890052 00010B03
	s_and_b32 s82, s82, 0xffffff                               // 000000009BC8: 8652FF52 00FFFFFF
	s_cmp_lt_u32 s82, s66                                      // 000000009BD0: BF0A4252
	s_cselect_b32 s21, s36, s60                                // 000000009BD4: 85153C24
	s_mov_b64 exec, s[20:21]                                   // 000000009BD8: BEFE0114
	global_atomic_add_f32 v6, v116, s[8:9]                     // 000000009BDC: DD348000 00087406
	global_atomic_add_f32 v6, v120, s[8:9] offset:256          // 000000009BE4: DD348100 00087806
	global_atomic_add_f32 v6, v124, s[8:9] offset:512          // 000000009BEC: DD348200 00087C06
	global_atomic_add_f32 v6, v128, s[8:9] offset:768          // 000000009BF4: DD348300 00088006
	s_mov_b64 exec, s[36:37]                                   // 000000009BFC: BEFE0124
	v_mov_b32_e32 v6, v43                                      // 000000009C00: 7E0C032B
	s_mov_b64 s[60:61], 0                                      // 000000009C04: BEBC0180
	v_readlane_b32 s82, v3, 6                                  // 000000009C08: D2890052 00010D03
	s_and_b32 s82, s82, 0xffffff                               // 000000009C10: 8652FF52 00FFFFFF
	s_cmp_lt_u32 s82, s66                                      // 000000009C18: BF0A4252
	s_cselect_b32 s20, s36, s60                                // 000000009C1C: 85143C24
	v_readlane_b32 s82, v3, 7                                  // 000000009C20: D2890052 00010F03
	s_and_b32 s82, s82, 0xffffff                               // 000000009C28: 8652FF52 00FFFFFF
	s_cmp_lt_u32 s82, s66                                      // 000000009C30: BF0A4252
	s_cselect_b32 s21, s36, s60                                // 000000009C34: 85153C24
	s_mov_b64 exec, s[20:21]                                   // 000000009C38: BEFE0114
	global_atomic_add_f32 v6, v117, s[8:9]                     // 000000009C3C: DD348000 00087506
	global_atomic_add_f32 v6, v121, s[8:9] offset:256          // 000000009C44: DD348100 00087906
	global_atomic_add_f32 v6, v125, s[8:9] offset:512          // 000000009C4C: DD348200 00087D06
	global_atomic_add_f32 v6, v129, s[8:9] offset:768          // 000000009C54: DD348300 00088106
	s_mov_b64 exec, s[36:37]                                   // 000000009C5C: BEFE0124
	v_mov_b32_e32 v6, v44                                      // 000000009C60: 7E0C032C
	s_mov_b64 s[60:61], 0                                      // 000000009C64: BEBC0180
	v_readlane_b32 s82, v3, 8                                  // 000000009C68: D2890052 00011103
	s_and_b32 s82, s82, 0xffffff                               // 000000009C70: 8652FF52 00FFFFFF
	s_cmp_lt_u32 s82, s66                                      // 000000009C78: BF0A4252
	s_cselect_b32 s20, s36, s60                                // 000000009C7C: 85143C24
	v_readlane_b32 s82, v3, 9                                  // 000000009C80: D2890052 00011303
	s_and_b32 s82, s82, 0xffffff                               // 000000009C88: 8652FF52 00FFFFFF
	s_cmp_lt_u32 s82, s66                                      // 000000009C90: BF0A4252
	s_cselect_b32 s21, s36, s60                                // 000000009C94: 85153C24
	s_mov_b64 exec, s[20:21]                                   // 000000009C98: BEFE0114
	global_atomic_add_f32 v6, v132, s[8:9]                     // 000000009C9C: DD348000 00088406
	global_atomic_add_f32 v6, v136, s[8:9] offset:256          // 000000009CA4: DD348100 00088806
	global_atomic_add_f32 v6, v140, s[8:9] offset:512          // 000000009CAC: DD348200 00088C06
	global_atomic_add_f32 v6, v144, s[8:9] offset:768          // 000000009CB4: DD348300 00089006
	s_mov_b64 exec, s[36:37]                                   // 000000009CBC: BEFE0124
	v_mov_b32_e32 v6, v45                                      // 000000009CC0: 7E0C032D
	s_mov_b64 s[60:61], 0                                      // 000000009CC4: BEBC0180
	v_readlane_b32 s82, v3, 10                                 // 000000009CC8: D2890052 00011503
	s_and_b32 s82, s82, 0xffffff                               // 000000009CD0: 8652FF52 00FFFFFF
	s_cmp_lt_u32 s82, s66                                      // 000000009CD8: BF0A4252
	s_cselect_b32 s20, s36, s60                                // 000000009CDC: 85143C24
	v_readlane_b32 s82, v3, 11                                 // 000000009CE0: D2890052 00011703
	s_and_b32 s82, s82, 0xffffff                               // 000000009CE8: 8652FF52 00FFFFFF
	s_cmp_lt_u32 s82, s66                                      // 000000009CF0: BF0A4252
	s_cselect_b32 s21, s36, s60                                // 000000009CF4: 85153C24
	s_mov_b64 exec, s[20:21]                                   // 000000009CF8: BEFE0114
	global_atomic_add_f32 v6, v133, s[8:9]                     // 000000009CFC: DD348000 00088506
	global_atomic_add_f32 v6, v137, s[8:9] offset:256          // 000000009D04: DD348100 00088906
	global_atomic_add_f32 v6, v141, s[8:9] offset:512          // 000000009D0C: DD348200 00088D06
	global_atomic_add_f32 v6, v145, s[8:9] offset:768          // 000000009D14: DD348300 00089106
	s_mov_b64 exec, s[36:37]                                   // 000000009D1C: BEFE0124
	ds_write_b64 v20, v[102:103]                               // 000000009D20: D89A0000 00006614
	ds_write_b64 v20, v[106:107] offset:8704                   // 000000009D28: D89A2200 00006A14
	ds_write_b64 v20, v[110:111] offset:17408                  // 000000009D30: D89A4400 00006E14
	ds_write_b64 v20, v[114:115] offset:2176                   // 000000009D38: D89A0880 00007214
	ds_write_b64 v20, v[118:119] offset:10880                  // 000000009D40: D89A2A80 00007614
	ds_write_b64 v20, v[122:123] offset:19584                  // 000000009D48: D89A4C80 00007A14
	ds_write_b64 v20, v[126:127] offset:4352                   // 000000009D50: D89A1100 00007E14
	ds_write_b64 v20, v[130:131] offset:13056                  // 000000009D58: D89A3300 00008214
	ds_write_b64 v20, v[134:135] offset:21760                  // 000000009D60: D89A5500 00008614
	ds_write_b64 v20, v[138:139] offset:6528                   // 000000009D68: D89A1980 00008A14
	ds_write_b64 v20, v[142:143] offset:15232                  // 000000009D70: D89A3B80 00008E14
	ds_write_b64 v20, v[146:147] offset:23936                  // 000000009D78: D89A5D80 00009214
	s_waitcnt lgkmcnt(0)                                       // 000000009D80: BF8CC07F
	s_barrier                                                  // 000000009D84: BF8A0000
	ds_read_b32 v102, v21                                      // 000000009D88: D86C0000 66000015
	ds_read_b32 v103, v21 offset:64                            // 000000009D90: D86C0040 67000015
	ds_read_b32 v106, v21 offset:2176                          // 000000009D98: D86C0880 6A000015
	ds_read_b32 v107, v21 offset:2240                          // 000000009DA0: D86C08C0 6B000015
	ds_read_b32 v110, v21 offset:4352                          // 000000009DA8: D86C1100 6E000015
	ds_read_b32 v111, v21 offset:4416                          // 000000009DB0: D86C1140 6F000015
	ds_read_b32 v114, v21 offset:6528                          // 000000009DB8: D86C1980 72000015
	ds_read_b32 v115, v21 offset:6592                          // 000000009DC0: D86C19C0 73000015
	ds_read_b32 v118, v21 offset:8704                          // 000000009DC8: D86C2200 76000015
	ds_read_b32 v119, v21 offset:8768                          // 000000009DD0: D86C2240 77000015
	ds_read_b32 v122, v21 offset:10880                         // 000000009DD8: D86C2A80 7A000015
	ds_read_b32 v123, v21 offset:10944                         // 000000009DE0: D86C2AC0 7B000015
	ds_read_b32 v126, v21 offset:13056                         // 000000009DE8: D86C3300 7E000015
	ds_read_b32 v127, v21 offset:13120                         // 000000009DF0: D86C3340 7F000015
	ds_read_b32 v130, v21 offset:15232                         // 000000009DF8: D86C3B80 82000015
	ds_read_b32 v131, v21 offset:15296                         // 000000009E00: D86C3BC0 83000015
	ds_read_b32 v134, v21 offset:17408                         // 000000009E08: D86C4400 86000015
	ds_read_b32 v135, v21 offset:17472                         // 000000009E10: D86C4440 87000015
	ds_read_b32 v138, v21 offset:19584                         // 000000009E18: D86C4C80 8A000015
	ds_read_b32 v139, v21 offset:19648                         // 000000009E20: D86C4CC0 8B000015
	ds_read_b32 v142, v21 offset:21760                         // 000000009E28: D86C5500 8E000015
	ds_read_b32 v143, v21 offset:21824                         // 000000009E30: D86C5540 8F000015
	ds_read_b32 v146, v21 offset:23936                         // 000000009E38: D86C5D80 92000015
	ds_read_b32 v147, v21 offset:24000                         // 000000009E40: D86C5DC0 93000015
	s_waitcnt lgkmcnt(0)                                       // 000000009E48: BF8CC07F
	v_mov_b32_e32 v7, 0                                        // 000000009E4C: 7E0E0280
	s_mov_b64 exec, s[36:37]                                   // 000000009E50: BEFE0124
	v_mov_b32_e32 v6, v40                                      // 000000009E54: 7E0C0328
	s_mov_b64 s[60:61], 0                                      // 000000009E58: BEBC0180
	v_readlane_b32 s82, v3, 0                                  // 000000009E5C: D2890052 00010103
	s_and_b32 s82, s82, 0xffffff                               // 000000009E64: 8652FF52 00FFFFFF
	s_cmp_lt_u32 s82, s66                                      // 000000009E6C: BF0A4252
	s_cselect_b32 s20, s36, s60                                // 000000009E70: 85143C24
	v_readlane_b32 s82, v3, 1                                  // 000000009E74: D2890052 00010303
	s_and_b32 s82, s82, 0xffffff                               // 000000009E7C: 8652FF52 00FFFFFF
	s_cmp_lt_u32 s82, s66                                      // 000000009E84: BF0A4252
	s_cselect_b32 s21, s36, s60                                // 000000009E88: 85153C24
	s_mov_b64 exec, s[20:21]                                   // 000000009E8C: BEFE0114
	global_atomic_add_f32 v6, v102, s[8:9] offset:8            // 000000009E90: DD348008 00086606
	global_atomic_add_f32 v6, v106, s[8:9] offset:264          // 000000009E98: DD348108 00086A06
	global_atomic_add_f32 v6, v110, s[8:9] offset:520          // 000000009EA0: DD348208 00086E06
	global_atomic_add_f32 v6, v114, s[8:9] offset:776          // 000000009EA8: DD348308 00087206
	s_mov_b64 exec, s[36:37]                                   // 000000009EB0: BEFE0124
	v_mov_b32_e32 v6, v41                                      // 000000009EB4: 7E0C0329
	s_mov_b64 s[60:61], 0                                      // 000000009EB8: BEBC0180
	v_readlane_b32 s82, v3, 2                                  // 000000009EBC: D2890052 00010503
	s_and_b32 s82, s82, 0xffffff                               // 000000009EC4: 8652FF52 00FFFFFF
	s_cmp_lt_u32 s82, s66                                      // 000000009ECC: BF0A4252
	s_cselect_b32 s20, s36, s60                                // 000000009ED0: 85143C24
	v_readlane_b32 s82, v3, 3                                  // 000000009ED4: D2890052 00010703
	s_and_b32 s82, s82, 0xffffff                               // 000000009EDC: 8652FF52 00FFFFFF
	s_cmp_lt_u32 s82, s66                                      // 000000009EE4: BF0A4252
	s_cselect_b32 s21, s36, s60                                // 000000009EE8: 85153C24
	s_mov_b64 exec, s[20:21]                                   // 000000009EEC: BEFE0114
	global_atomic_add_f32 v6, v103, s[8:9] offset:8            // 000000009EF0: DD348008 00086706
	global_atomic_add_f32 v6, v107, s[8:9] offset:264          // 000000009EF8: DD348108 00086B06
	global_atomic_add_f32 v6, v111, s[8:9] offset:520          // 000000009F00: DD348208 00086F06
	global_atomic_add_f32 v6, v115, s[8:9] offset:776          // 000000009F08: DD348308 00087306
	s_mov_b64 exec, s[36:37]                                   // 000000009F10: BEFE0124
	v_mov_b32_e32 v6, v42                                      // 000000009F14: 7E0C032A
	s_mov_b64 s[60:61], 0                                      // 000000009F18: BEBC0180
	v_readlane_b32 s82, v3, 4                                  // 000000009F1C: D2890052 00010903
	s_and_b32 s82, s82, 0xffffff                               // 000000009F24: 8652FF52 00FFFFFF
	s_cmp_lt_u32 s82, s66                                      // 000000009F2C: BF0A4252
	s_cselect_b32 s20, s36, s60                                // 000000009F30: 85143C24
	v_readlane_b32 s82, v3, 5                                  // 000000009F34: D2890052 00010B03
	s_and_b32 s82, s82, 0xffffff                               // 000000009F3C: 8652FF52 00FFFFFF
	s_cmp_lt_u32 s82, s66                                      // 000000009F44: BF0A4252
	s_cselect_b32 s21, s36, s60                                // 000000009F48: 85153C24
	s_mov_b64 exec, s[20:21]                                   // 000000009F4C: BEFE0114
	global_atomic_add_f32 v6, v118, s[8:9] offset:8            // 000000009F50: DD348008 00087606
	global_atomic_add_f32 v6, v122, s[8:9] offset:264          // 000000009F58: DD348108 00087A06
	global_atomic_add_f32 v6, v126, s[8:9] offset:520          // 000000009F60: DD348208 00087E06
	global_atomic_add_f32 v6, v130, s[8:9] offset:776          // 000000009F68: DD348308 00088206
	s_mov_b64 exec, s[36:37]                                   // 000000009F70: BEFE0124
	v_mov_b32_e32 v6, v43                                      // 000000009F74: 7E0C032B
	s_mov_b64 s[60:61], 0                                      // 000000009F78: BEBC0180
	v_readlane_b32 s82, v3, 6                                  // 000000009F7C: D2890052 00010D03
	s_and_b32 s82, s82, 0xffffff                               // 000000009F84: 8652FF52 00FFFFFF
	s_cmp_lt_u32 s82, s66                                      // 000000009F8C: BF0A4252
	s_cselect_b32 s20, s36, s60                                // 000000009F90: 85143C24
	v_readlane_b32 s82, v3, 7                                  // 000000009F94: D2890052 00010F03
	s_and_b32 s82, s82, 0xffffff                               // 000000009F9C: 8652FF52 00FFFFFF
	s_cmp_lt_u32 s82, s66                                      // 000000009FA4: BF0A4252
	s_cselect_b32 s21, s36, s60                                // 000000009FA8: 85153C24
	s_mov_b64 exec, s[20:21]                                   // 000000009FAC: BEFE0114
	global_atomic_add_f32 v6, v119, s[8:9] offset:8            // 000000009FB0: DD348008 00087706
	global_atomic_add_f32 v6, v123, s[8:9] offset:264          // 000000009FB8: DD348108 00087B06
	global_atomic_add_f32 v6, v127, s[8:9] offset:520          // 000000009FC0: DD348208 00087F06
	global_atomic_add_f32 v6, v131, s[8:9] offset:776          // 000000009FC8: DD348308 00088306
	s_mov_b64 exec, s[36:37]                                   // 000000009FD0: BEFE0124
	v_mov_b32_e32 v6, v44                                      // 000000009FD4: 7E0C032C
	s_mov_b64 s[60:61], 0                                      // 000000009FD8: BEBC0180
	v_readlane_b32 s82, v3, 8                                  // 000000009FDC: D2890052 00011103
	s_and_b32 s82, s82, 0xffffff                               // 000000009FE4: 8652FF52 00FFFFFF
	s_cmp_lt_u32 s82, s66                                      // 000000009FEC: BF0A4252
	s_cselect_b32 s20, s36, s60                                // 000000009FF0: 85143C24
	v_readlane_b32 s82, v3, 9                                  // 000000009FF4: D2890052 00011303
	s_and_b32 s82, s82, 0xffffff                               // 000000009FFC: 8652FF52 00FFFFFF
	s_cmp_lt_u32 s82, s66                                      // 00000000A004: BF0A4252
	s_cselect_b32 s21, s36, s60                                // 00000000A008: 85153C24
	s_mov_b64 exec, s[20:21]                                   // 00000000A00C: BEFE0114
	global_atomic_add_f32 v6, v134, s[8:9] offset:8            // 00000000A010: DD348008 00088606
	global_atomic_add_f32 v6, v138, s[8:9] offset:264          // 00000000A018: DD348108 00088A06
	global_atomic_add_f32 v6, v142, s[8:9] offset:520          // 00000000A020: DD348208 00088E06
	global_atomic_add_f32 v6, v146, s[8:9] offset:776          // 00000000A028: DD348308 00089206
	s_mov_b64 exec, s[36:37]                                   // 00000000A030: BEFE0124
	v_mov_b32_e32 v6, v45                                      // 00000000A034: 7E0C032D
	s_mov_b64 s[60:61], 0                                      // 00000000A038: BEBC0180
	v_readlane_b32 s82, v3, 10                                 // 00000000A03C: D2890052 00011503
	s_and_b32 s82, s82, 0xffffff                               // 00000000A044: 8652FF52 00FFFFFF
	s_cmp_lt_u32 s82, s66                                      // 00000000A04C: BF0A4252
	s_cselect_b32 s20, s36, s60                                // 00000000A050: 85143C24
	v_readlane_b32 s82, v3, 11                                 // 00000000A054: D2890052 00011703
	s_and_b32 s82, s82, 0xffffff                               // 00000000A05C: 8652FF52 00FFFFFF
	s_cmp_lt_u32 s82, s66                                      // 00000000A064: BF0A4252
	s_cselect_b32 s21, s36, s60                                // 00000000A068: 85153C24
	s_mov_b64 exec, s[20:21]                                   // 00000000A06C: BEFE0114
	global_atomic_add_f32 v6, v135, s[8:9] offset:8            // 00000000A070: DD348008 00088706
	global_atomic_add_f32 v6, v139, s[8:9] offset:264          // 00000000A078: DD348108 00088B06
	global_atomic_add_f32 v6, v143, s[8:9] offset:520          // 00000000A080: DD348208 00088F06
	global_atomic_add_f32 v6, v147, s[8:9] offset:776          // 00000000A088: DD348308 00089306
	s_mov_b64 exec, s[36:37]                                   // 00000000A090: BEFE0124
	s_branch label_1DA9                                        // 00000000A094: BF820000

000000000000a098 <label_1DA9>:
	s_waitcnt vmcnt(0) expcnt(0) lgkmcnt(0)                    // 00000000A098: BF8C0000
	s_endpgm                                                   // 00000000A09C: BF810000
